;; amdgpu-corpus repo=ROCm/rocFFT kind=compiled arch=gfx950 opt=O3
	.text
	.amdgcn_target "amdgcn-amd-amdhsa--gfx950"
	.amdhsa_code_object_version 6
	.protected	fft_rtc_fwd_len1690_factors_13_10_13_wgs_169_tpt_169_sp_ip_CI_unitstride_sbrr_C2R_dirReg ; -- Begin function fft_rtc_fwd_len1690_factors_13_10_13_wgs_169_tpt_169_sp_ip_CI_unitstride_sbrr_C2R_dirReg
	.globl	fft_rtc_fwd_len1690_factors_13_10_13_wgs_169_tpt_169_sp_ip_CI_unitstride_sbrr_C2R_dirReg
	.p2align	8
	.type	fft_rtc_fwd_len1690_factors_13_10_13_wgs_169_tpt_169_sp_ip_CI_unitstride_sbrr_C2R_dirReg,@function
fft_rtc_fwd_len1690_factors_13_10_13_wgs_169_tpt_169_sp_ip_CI_unitstride_sbrr_C2R_dirReg: ; @fft_rtc_fwd_len1690_factors_13_10_13_wgs_169_tpt_169_sp_ip_CI_unitstride_sbrr_C2R_dirReg
; %bb.0:
	s_load_dwordx2 s[8:9], s[0:1], 0x50
	s_load_dwordx4 s[4:7], s[0:1], 0x0
	s_load_dwordx2 s[10:11], s[0:1], 0x18
	v_mul_u32_u24_e32 v1, 0x184, v0
	v_add_u32_sdwa v6, s2, v1 dst_sel:DWORD dst_unused:UNUSED_PAD src0_sel:DWORD src1_sel:WORD_1
	v_mov_b32_e32 v4, 0
	s_waitcnt lgkmcnt(0)
	v_cmp_lt_u64_e64 s[2:3], s[6:7], 2
	v_mov_b32_e32 v7, v4
	s_and_b64 vcc, exec, s[2:3]
	v_mov_b64_e32 v[2:3], 0
	s_cbranch_vccnz .LBB0_8
; %bb.1:
	s_load_dwordx2 s[2:3], s[0:1], 0x10
	s_add_u32 s12, s10, 8
	s_addc_u32 s13, s11, 0
	s_mov_b64 s[14:15], 1
	v_mov_b64_e32 v[2:3], 0
	s_waitcnt lgkmcnt(0)
	s_add_u32 s16, s2, 8
	s_addc_u32 s17, s3, 0
.LBB0_2:                                ; =>This Inner Loop Header: Depth=1
	s_load_dwordx2 s[18:19], s[16:17], 0x0
                                        ; implicit-def: $vgpr8_vgpr9
	s_waitcnt lgkmcnt(0)
	v_or_b32_e32 v5, s19, v7
	v_cmp_ne_u64_e32 vcc, 0, v[4:5]
	s_and_saveexec_b64 s[2:3], vcc
	s_xor_b64 s[20:21], exec, s[2:3]
	s_cbranch_execz .LBB0_4
; %bb.3:                                ;   in Loop: Header=BB0_2 Depth=1
	v_cvt_f32_u32_e32 v1, s18
	v_cvt_f32_u32_e32 v5, s19
	s_sub_u32 s2, 0, s18
	s_subb_u32 s3, 0, s19
	v_fmac_f32_e32 v1, 0x4f800000, v5
	v_rcp_f32_e32 v1, v1
	s_nop 0
	v_mul_f32_e32 v1, 0x5f7ffffc, v1
	v_mul_f32_e32 v5, 0x2f800000, v1
	v_trunc_f32_e32 v5, v5
	v_fmac_f32_e32 v1, 0xcf800000, v5
	v_cvt_u32_f32_e32 v5, v5
	v_cvt_u32_f32_e32 v1, v1
	v_mul_lo_u32 v8, s2, v5
	v_mul_hi_u32 v10, s2, v1
	v_mul_lo_u32 v9, s3, v1
	v_add_u32_e32 v10, v10, v8
	v_mul_lo_u32 v12, s2, v1
	v_add_u32_e32 v13, v10, v9
	v_mul_hi_u32 v8, v1, v12
	v_mul_hi_u32 v11, v1, v13
	v_mul_lo_u32 v10, v1, v13
	v_mov_b32_e32 v9, v4
	v_lshl_add_u64 v[8:9], v[8:9], 0, v[10:11]
	v_mul_hi_u32 v11, v5, v12
	v_mul_lo_u32 v12, v5, v12
	v_add_co_u32_e32 v8, vcc, v8, v12
	v_mul_hi_u32 v10, v5, v13
	s_nop 0
	v_addc_co_u32_e32 v8, vcc, v9, v11, vcc
	v_mov_b32_e32 v9, v4
	s_nop 0
	v_addc_co_u32_e32 v11, vcc, 0, v10, vcc
	v_mul_lo_u32 v10, v5, v13
	v_lshl_add_u64 v[8:9], v[8:9], 0, v[10:11]
	v_add_co_u32_e32 v1, vcc, v1, v8
	v_mul_lo_u32 v10, s2, v1
	s_nop 0
	v_addc_co_u32_e32 v5, vcc, v5, v9, vcc
	v_mul_lo_u32 v8, s2, v5
	v_mul_hi_u32 v9, s2, v1
	v_add_u32_e32 v8, v9, v8
	v_mul_lo_u32 v9, s3, v1
	v_add_u32_e32 v12, v8, v9
	v_mul_hi_u32 v14, v5, v10
	v_mul_lo_u32 v15, v5, v10
	v_mul_hi_u32 v9, v1, v12
	v_mul_lo_u32 v8, v1, v12
	v_mul_hi_u32 v10, v1, v10
	v_mov_b32_e32 v11, v4
	v_lshl_add_u64 v[8:9], v[10:11], 0, v[8:9]
	v_add_co_u32_e32 v8, vcc, v8, v15
	v_mul_hi_u32 v13, v5, v12
	s_nop 0
	v_addc_co_u32_e32 v8, vcc, v9, v14, vcc
	v_mul_lo_u32 v10, v5, v12
	s_nop 0
	v_addc_co_u32_e32 v11, vcc, 0, v13, vcc
	v_mov_b32_e32 v9, v4
	v_lshl_add_u64 v[8:9], v[8:9], 0, v[10:11]
	v_add_co_u32_e32 v1, vcc, v1, v8
	v_mul_hi_u32 v10, v6, v1
	s_nop 0
	v_addc_co_u32_e32 v5, vcc, v5, v9, vcc
	v_mad_u64_u32 v[8:9], s[2:3], v6, v5, 0
	v_mov_b32_e32 v11, v4
	v_lshl_add_u64 v[8:9], v[10:11], 0, v[8:9]
	v_mad_u64_u32 v[12:13], s[2:3], v7, v1, 0
	v_add_co_u32_e32 v1, vcc, v8, v12
	v_mad_u64_u32 v[10:11], s[2:3], v7, v5, 0
	s_nop 0
	v_addc_co_u32_e32 v8, vcc, v9, v13, vcc
	v_mov_b32_e32 v9, v4
	s_nop 0
	v_addc_co_u32_e32 v11, vcc, 0, v11, vcc
	v_lshl_add_u64 v[8:9], v[8:9], 0, v[10:11]
	v_mul_lo_u32 v1, s19, v8
	v_mul_lo_u32 v5, s18, v9
	v_mad_u64_u32 v[10:11], s[2:3], s18, v8, 0
	v_add3_u32 v1, v11, v5, v1
	v_sub_u32_e32 v5, v7, v1
	v_mov_b32_e32 v11, s19
	v_sub_co_u32_e32 v14, vcc, v6, v10
	v_lshl_add_u64 v[12:13], v[8:9], 0, 1
	s_nop 0
	v_subb_co_u32_e64 v5, s[2:3], v5, v11, vcc
	v_subrev_co_u32_e64 v10, s[2:3], s18, v14
	v_subb_co_u32_e32 v1, vcc, v7, v1, vcc
	s_nop 0
	v_subbrev_co_u32_e64 v5, s[2:3], 0, v5, s[2:3]
	v_cmp_le_u32_e64 s[2:3], s19, v5
	v_cmp_le_u32_e32 vcc, s19, v1
	s_nop 0
	v_cndmask_b32_e64 v11, 0, -1, s[2:3]
	v_cmp_le_u32_e64 s[2:3], s18, v10
	s_nop 1
	v_cndmask_b32_e64 v10, 0, -1, s[2:3]
	v_cmp_eq_u32_e64 s[2:3], s19, v5
	s_nop 1
	v_cndmask_b32_e64 v5, v11, v10, s[2:3]
	v_lshl_add_u64 v[10:11], v[8:9], 0, 2
	v_cmp_ne_u32_e64 s[2:3], 0, v5
	s_nop 1
	v_cndmask_b32_e64 v5, v13, v11, s[2:3]
	v_cndmask_b32_e64 v11, 0, -1, vcc
	v_cmp_le_u32_e32 vcc, s18, v14
	s_nop 1
	v_cndmask_b32_e64 v13, 0, -1, vcc
	v_cmp_eq_u32_e32 vcc, s19, v1
	s_nop 1
	v_cndmask_b32_e32 v1, v11, v13, vcc
	v_cmp_ne_u32_e32 vcc, 0, v1
	v_cndmask_b32_e64 v1, v12, v10, s[2:3]
	s_nop 0
	v_cndmask_b32_e32 v9, v9, v5, vcc
	v_cndmask_b32_e32 v8, v8, v1, vcc
.LBB0_4:                                ;   in Loop: Header=BB0_2 Depth=1
	s_andn2_saveexec_b64 s[2:3], s[20:21]
	s_cbranch_execz .LBB0_6
; %bb.5:                                ;   in Loop: Header=BB0_2 Depth=1
	v_cvt_f32_u32_e32 v1, s18
	s_sub_i32 s20, 0, s18
	v_rcp_iflag_f32_e32 v1, v1
	s_nop 0
	v_mul_f32_e32 v1, 0x4f7ffffe, v1
	v_cvt_u32_f32_e32 v1, v1
	v_mul_lo_u32 v5, s20, v1
	v_mul_hi_u32 v5, v1, v5
	v_add_u32_e32 v1, v1, v5
	v_mul_hi_u32 v1, v6, v1
	v_mul_lo_u32 v5, v1, s18
	v_sub_u32_e32 v5, v6, v5
	v_add_u32_e32 v8, 1, v1
	v_subrev_u32_e32 v9, s18, v5
	v_cmp_le_u32_e32 vcc, s18, v5
	s_nop 1
	v_cndmask_b32_e32 v5, v5, v9, vcc
	v_cndmask_b32_e32 v1, v1, v8, vcc
	v_add_u32_e32 v8, 1, v1
	v_cmp_le_u32_e32 vcc, s18, v5
	v_mov_b32_e32 v9, v4
	s_nop 0
	v_cndmask_b32_e32 v8, v1, v8, vcc
.LBB0_6:                                ;   in Loop: Header=BB0_2 Depth=1
	s_or_b64 exec, exec, s[2:3]
	v_mad_u64_u32 v[10:11], s[2:3], v8, s18, 0
	s_load_dwordx2 s[2:3], s[12:13], 0x0
	v_mul_lo_u32 v1, v9, s18
	v_mul_lo_u32 v5, v8, s19
	v_add3_u32 v1, v11, v5, v1
	v_sub_co_u32_e32 v5, vcc, v6, v10
	s_add_u32 s14, s14, 1
	s_nop 0
	v_subb_co_u32_e32 v1, vcc, v7, v1, vcc
	s_addc_u32 s15, s15, 0
	s_waitcnt lgkmcnt(0)
	v_mul_lo_u32 v1, s2, v1
	v_mul_lo_u32 v6, s3, v5
	v_mad_u64_u32 v[2:3], s[2:3], s2, v5, v[2:3]
	s_add_u32 s12, s12, 8
	v_add3_u32 v3, v6, v3, v1
	s_addc_u32 s13, s13, 0
	v_mov_b64_e32 v[6:7], s[6:7]
	s_add_u32 s16, s16, 8
	v_cmp_ge_u64_e32 vcc, s[14:15], v[6:7]
	s_addc_u32 s17, s17, 0
	s_cbranch_vccnz .LBB0_9
; %bb.7:                                ;   in Loop: Header=BB0_2 Depth=1
	v_mov_b64_e32 v[6:7], v[8:9]
	s_branch .LBB0_2
.LBB0_8:
	v_mov_b64_e32 v[8:9], v[6:7]
.LBB0_9:
	s_lshl_b64 s[2:3], s[6:7], 3
	s_add_u32 s2, s10, s2
	s_addc_u32 s3, s11, s3
	s_load_dwordx2 s[6:7], s[2:3], 0x0
	s_load_dwordx2 s[10:11], s[0:1], 0x20
	s_mov_b32 s2, 0x183c978
	s_waitcnt lgkmcnt(0)
	v_mul_lo_u32 v1, s6, v9
	v_mul_lo_u32 v4, s7, v8
	v_mad_u64_u32 v[2:3], s[0:1], s6, v8, v[2:3]
	v_add3_u32 v3, v4, v3, v1
	v_mul_hi_u32 v1, v0, s2
	v_mul_u32_u24_e32 v1, 0xa9, v1
	v_cmp_gt_u64_e64 s[0:1], s[10:11], v[8:9]
	v_sub_u32_e32 v28, v0, v1
	v_lshl_add_u64 v[30:31], v[2:3], 3, s[8:9]
	s_and_saveexec_b64 s[2:3], s[0:1]
	s_cbranch_execz .LBB0_13
; %bb.10:
	v_mov_b32_e32 v29, 0
	v_lshl_add_u64 v[0:1], v[28:29], 3, v[30:31]
	v_add_co_u32_e32 v10, vcc, 0x1000, v0
	global_load_dwordx2 v[2:3], v[0:1], off
	global_load_dwordx2 v[4:5], v[0:1], off offset:1352
	global_load_dwordx2 v[6:7], v[0:1], off offset:2704
	;; [unrolled: 1-line block ×3, first 2 shown]
	v_addc_co_u32_e32 v11, vcc, 0, v1, vcc
	v_add_co_u32_e32 v0, vcc, 0x2000, v0
	s_movk_i32 s6, 0xa8
	s_nop 0
	v_addc_co_u32_e32 v1, vcc, 0, v1, vcc
	global_load_dwordx2 v[12:13], v[10:11], off offset:1312
	global_load_dwordx2 v[14:15], v[10:11], off offset:2664
	;; [unrolled: 1-line block ×6, first 2 shown]
	v_lshl_add_u32 v0, v28, 3, 0
	v_cmp_eq_u32_e32 vcc, s6, v28
	v_add_u32_e32 v1, 0x800, v0
	v_add_u32_e32 v10, 0x1400, v0
	;; [unrolled: 1-line block ×4, first 2 shown]
	s_waitcnt vmcnt(8)
	ds_write2_b64 v0, v[2:3], v[4:5] offset1:169
	s_waitcnt vmcnt(6)
	ds_write2_b64 v1, v[6:7], v[8:9] offset0:82 offset1:251
	s_waitcnt vmcnt(4)
	ds_write2_b64 v10, v[12:13], v[14:15] offset0:36 offset1:205
	;; [unrolled: 2-line block ×4, first 2 shown]
	s_and_saveexec_b64 s[6:7], vcc
	s_cbranch_execz .LBB0_12
; %bb.11:
	v_add_co_u32_e32 v0, vcc, 0x3000, v30
	v_mov_b32_e32 v28, 0xa8
	s_nop 0
	v_addc_co_u32_e32 v1, vcc, 0, v31, vcc
	global_load_dwordx2 v[0:1], v[0:1], off offset:1232
	s_waitcnt vmcnt(0)
	ds_write_b64 v29, v[0:1] offset:13520
.LBB0_12:
	s_or_b64 exec, exec, s[6:7]
.LBB0_13:
	s_or_b64 exec, exec, s[2:3]
	v_lshlrev_b32_e32 v0, 3, v28
	v_add_u32_e32 v132, 0, v0
	s_waitcnt lgkmcnt(0)
	s_barrier
	v_sub_u32_e32 v4, 0, v0
	ds_read_b32 v1, v132
	ds_read_b32 v2, v4 offset:13520
	s_add_u32 s2, s4, 0x3468
	s_addc_u32 s3, s5, 0
	v_cmp_ne_u32_e32 vcc, 0, v28
	s_waitcnt lgkmcnt(0)
	v_add_f32_e32 v0, v2, v1
	v_sub_f32_e32 v1, v1, v2
                                        ; implicit-def: $vgpr2_vgpr3
	s_and_saveexec_b64 s[6:7], vcc
	s_xor_b64 s[6:7], exec, s[6:7]
	s_cbranch_execz .LBB0_15
; %bb.14:
	v_mov_b32_e32 v29, 0
	v_lshl_add_u64 v[2:3], v[28:29], 3, s[2:3]
	global_load_dwordx2 v[6:7], v[2:3], off
	ds_read_b32 v5, v4 offset:13524
	ds_read_b32 v11, v132 offset:4
	v_mov_b32_e32 v8, v1
	v_mov_b32_e32 v10, v0
	;; [unrolled: 1-line block ×3, first 2 shown]
	v_mov_b64_e32 v[2:3], v[28:29]
	s_waitcnt lgkmcnt(0)
	v_add_f32_e32 v9, v5, v11
	v_sub_f32_e32 v11, v11, v5
	v_mov_b32_e32 v12, v9
	s_waitcnt vmcnt(0)
	v_pk_mul_f32 v[14:15], v[8:9], v[6:7] op_sel:[0,1]
	v_pk_fma_f32 v[8:9], v[8:9], v[6:7], v[10:11] op_sel:[0,1,0]
	v_mov_b32_e32 v1, v15
	v_mov_b32_e32 v15, v11
	v_pk_fma_f32 v[16:17], v[6:7], v[12:13], v[8:9] neg_lo:[1,0,0] neg_hi:[1,0,0]
	v_pk_fma_f32 v[8:9], v[6:7], v[12:13], v[8:9] op_sel_hi:[0,1,1]
	v_pk_add_f32 v[0:1], v[0:1], v[14:15] neg_lo:[0,1] neg_hi:[0,1]
	v_mov_b32_e32 v17, v9
	v_pk_fma_f32 v[0:1], v[6:7], v[12:13], v[0:1] op_sel_hi:[0,1,1]
	ds_write_b64 v4, v[0:1] offset:13520
	v_mov_b64_e32 v[0:1], v[16:17]
.LBB0_15:
	s_andn2_saveexec_b64 s[6:7], s[6:7]
	s_cbranch_execz .LBB0_17
; %bb.16:
	v_mov_b32_e32 v5, 0
	ds_read_b64 v[2:3], v5 offset:6760
	s_mov_b32 s8, 2.0
	s_mov_b32 s9, -2.0
	s_waitcnt lgkmcnt(0)
	v_pk_mul_f32 v[2:3], v[2:3], s[8:9]
	ds_write_b64 v5, v[2:3] offset:6760
	v_mov_b64_e32 v[2:3], 0
.LBB0_17:
	s_or_b64 exec, exec, s[6:7]
	v_lshl_add_u64 v[2:3], v[2:3], 3, s[2:3]
	global_load_dwordx2 v[6:7], v[2:3], off offset:1352
	global_load_dwordx2 v[8:9], v[2:3], off offset:2704
	;; [unrolled: 1-line block ×3, first 2 shown]
	s_movk_i32 s2, 0x1000
	v_add_co_u32_e32 v2, vcc, s2, v2
	ds_write_b64 v132, v[0:1]
	s_nop 0
	v_addc_co_u32_e32 v3, vcc, 0, v3, vcc
	global_load_dwordx2 v[2:3], v[2:3], off offset:1312
	ds_read_b64 v[0:1], v4 offset:12168
	ds_read_b64 v[12:13], v132 offset:1352
	v_add_u32_e32 v29, 0x800, v132
	v_add_u32_e32 v5, 0x1000, v132
	;; [unrolled: 1-line block ×4, first 2 shown]
	s_waitcnt lgkmcnt(0)
	v_pk_add_f32 v[14:15], v[12:13], v[0:1]
	v_pk_add_f32 v[0:1], v[12:13], v[0:1] neg_lo:[0,1] neg_hi:[0,1]
	v_mov_b32_e32 v12, v15
	v_mov_b32_e32 v13, v0
	;; [unrolled: 1-line block ×3, first 2 shown]
	s_mov_b32 s10, 0xbf52af12
	s_mov_b32 s2, 0x3f116cb1
	;; [unrolled: 1-line block ×15, first 2 shown]
	s_waitcnt vmcnt(3)
	v_pk_mul_f32 v[16:17], v[12:13], v[6:7] op_sel:[0,1]
	s_nop 0
	v_pk_add_f32 v[18:19], v[14:15], v[16:17] op_sel:[0,1] op_sel_hi:[1,0]
	v_mov_b32_e32 v15, v16
	v_mov_b32_e32 v0, v17
	v_pk_fma_f32 v[16:17], v[6:7], v[12:13], v[18:19] neg_lo:[1,0,0] neg_hi:[1,0,0]
	v_pk_fma_f32 v[18:19], v[6:7], v[12:13], v[18:19] op_sel_hi:[0,1,1]
	v_pk_add_f32 v[0:1], v[14:15], v[0:1] neg_lo:[0,1] neg_hi:[0,1]
	v_mov_b32_e32 v17, v19
	v_pk_fma_f32 v[0:1], v[6:7], v[12:13], v[0:1] op_sel_hi:[0,1,1]
	ds_write_b64 v132, v[16:17] offset:1352
	ds_write_b64 v4, v[0:1] offset:12168
	ds_read_b64 v[0:1], v4 offset:10816
	ds_read_b64 v[6:7], v132 offset:2704
	s_waitcnt lgkmcnt(0)
	v_pk_add_f32 v[12:13], v[6:7], v[0:1]
	v_pk_add_f32 v[0:1], v[6:7], v[0:1] neg_lo:[0,1] neg_hi:[0,1]
	v_mov_b32_e32 v6, v13
	v_mov_b32_e32 v7, v0
	v_mov_b32_e32 v13, v1
	s_waitcnt vmcnt(2)
	v_pk_mul_f32 v[14:15], v[6:7], v[8:9] op_sel:[0,1]
	s_nop 0
	v_pk_add_f32 v[16:17], v[12:13], v[14:15] op_sel:[0,1] op_sel_hi:[1,0]
	v_mov_b32_e32 v13, v14
	v_mov_b32_e32 v0, v15
	v_pk_fma_f32 v[14:15], v[8:9], v[6:7], v[16:17] neg_lo:[1,0,0] neg_hi:[1,0,0]
	v_pk_fma_f32 v[16:17], v[8:9], v[6:7], v[16:17] op_sel_hi:[0,1,1]
	v_pk_add_f32 v[0:1], v[12:13], v[0:1] neg_lo:[0,1] neg_hi:[0,1]
	v_mov_b32_e32 v15, v17
	v_pk_fma_f32 v[0:1], v[8:9], v[6:7], v[0:1] op_sel_hi:[0,1,1]
	ds_write_b64 v132, v[14:15] offset:2704
	ds_write_b64 v4, v[0:1] offset:10816
	ds_read_b64 v[0:1], v4 offset:9464
	ds_read_b64 v[6:7], v132 offset:4056
	s_waitcnt lgkmcnt(0)
	v_pk_add_f32 v[8:9], v[6:7], v[0:1]
	v_pk_add_f32 v[0:1], v[6:7], v[0:1] neg_lo:[0,1] neg_hi:[0,1]
	v_mov_b32_e32 v6, v9
	v_mov_b32_e32 v7, v0
	v_mov_b32_e32 v9, v1
	;; [unrolled: 21-line block ×3, first 2 shown]
	s_waitcnt vmcnt(0)
	v_pk_mul_f32 v[10:11], v[6:7], v[2:3] op_sel:[0,1]
	s_nop 0
	v_pk_add_f32 v[12:13], v[8:9], v[10:11] op_sel:[0,1] op_sel_hi:[1,0]
	v_mov_b32_e32 v9, v10
	v_mov_b32_e32 v0, v11
	v_pk_fma_f32 v[10:11], v[2:3], v[6:7], v[12:13] neg_lo:[1,0,0] neg_hi:[1,0,0]
	v_pk_fma_f32 v[12:13], v[2:3], v[6:7], v[12:13] op_sel_hi:[0,1,1]
	v_pk_add_f32 v[0:1], v[8:9], v[0:1] neg_lo:[0,1] neg_hi:[0,1]
	v_mov_b32_e32 v11, v13
	v_pk_fma_f32 v[0:1], v[2:3], v[6:7], v[0:1] op_sel_hi:[0,1,1]
	ds_write_b64 v132, v[10:11] offset:5408
	ds_write_b64 v4, v[0:1] offset:8112
	s_waitcnt lgkmcnt(0)
	s_barrier
	s_barrier
	ds_read2_b64 v[0:3], v132 offset1:130
	ds_read_b64 v[74:75], v132 offset:12480
	ds_read2_b64 v[16:19], v29 offset0:4 offset1:134
	ds_read2_b64 v[8:11], v133 offset0:20 offset1:150
	;; [unrolled: 1-line block ×4, first 2 shown]
	s_waitcnt lgkmcnt(4)
	v_pk_add_f32 v[48:49], v[2:3], v[74:75] neg_lo:[0,1] neg_hi:[0,1]
	v_pk_add_f32 v[46:47], v[74:75], v[2:3]
	s_waitcnt lgkmcnt(2)
	v_pk_add_f32 v[44:45], v[16:17], v[10:11] neg_lo:[0,1] neg_hi:[0,1]
	v_pk_mul_f32 v[4:5], v[48:49], s[10:11] op_sel_hi:[1,0]
	v_pk_add_f32 v[42:43], v[10:11], v[16:17]
	v_pk_mul_f32 v[6:7], v[44:45], s[8:9] op_sel_hi:[1,0]
	v_pk_fma_f32 v[64:65], v[46:47], s[2:3], v[4:5] op_sel:[0,0,1] op_sel_hi:[1,0,0] neg_lo:[0,0,1] neg_hi:[0,0,1]
	v_pk_fma_f32 v[68:69], v[46:47], s[2:3], v[4:5] op_sel:[0,0,1] op_sel_hi:[1,0,0]
	v_pk_add_f32 v[40:41], v[18:19], v[8:9] neg_lo:[0,1] neg_hi:[0,1]
	v_pk_fma_f32 v[60:61], v[42:43], s[6:7], v[6:7] op_sel:[0,0,1] op_sel_hi:[1,0,0] neg_lo:[0,0,1] neg_hi:[0,0,1]
	v_pk_fma_f32 v[66:67], v[42:43], s[6:7], v[6:7] op_sel:[0,0,1] op_sel_hi:[1,0,0]
	v_mov_b32_e32 v4, v68
	v_mov_b32_e32 v5, v65
	v_pk_add_f32 v[38:39], v[8:9], v[18:19]
	s_waitcnt lgkmcnt(0)
	v_pk_add_f32 v[36:37], v[20:21], v[14:15] neg_lo:[0,1] neg_hi:[0,1]
	v_pk_mul_f32 v[24:25], v[40:41], s[16:17] op_sel_hi:[1,0]
	v_mov_b32_e32 v6, v66
	v_mov_b32_e32 v7, v61
	v_pk_add_f32 v[4:5], v[0:1], v[4:5]
	v_pk_add_f32 v[34:35], v[14:15], v[20:21]
	v_pk_fma_f32 v[58:59], v[38:39], s[14:15], v[24:25] op_sel:[0,0,1] op_sel_hi:[1,0,0] neg_lo:[0,0,1] neg_hi:[0,0,1]
	v_pk_fma_f32 v[62:63], v[38:39], s[14:15], v[24:25] op_sel:[0,0,1] op_sel_hi:[1,0,0]
	v_pk_add_f32 v[4:5], v[6:7], v[4:5]
	v_pk_mul_f32 v[6:7], v[36:37], s[24:25] op_sel_hi:[1,0]
	v_mov_b32_e32 v24, v62
	v_mov_b32_e32 v25, v59
	v_pk_fma_f32 v[70:71], v[34:35], s[12:13], v[6:7] op_sel:[0,0,1] op_sel_hi:[1,0,0] neg_lo:[0,0,1] neg_hi:[0,0,1]
	v_pk_fma_f32 v[72:73], v[34:35], s[12:13], v[6:7] op_sel:[0,0,1] op_sel_hi:[1,0,0]
	v_pk_add_f32 v[4:5], v[24:25], v[4:5]
	v_mov_b32_e32 v6, v72
	v_mov_b32_e32 v7, v71
	v_pk_add_f32 v[52:53], v[22:23], v[12:13] neg_lo:[0,1] neg_hi:[0,1]
	v_pk_add_f32 v[4:5], v[6:7], v[4:5]
	v_pk_add_f32 v[50:51], v[12:13], v[22:23]
	v_pk_mul_f32 v[6:7], v[52:53], s[20:21] op_sel_hi:[1,0]
	v_pk_mul_f32 v[24:25], v[44:45], s[16:17] op_sel_hi:[1,0]
	v_pk_fma_f32 v[76:77], v[50:51], s[18:19], v[6:7] op_sel:[0,0,1] op_sel_hi:[1,0,0] neg_lo:[0,0,1] neg_hi:[0,0,1]
	v_pk_fma_f32 v[78:79], v[50:51], s[18:19], v[6:7] op_sel:[0,0,1] op_sel_hi:[1,0,0]
	v_mov_b32_e32 v7, v77
	v_mov_b32_e32 v6, v78
	v_pk_add_f32 v[4:5], v[6:7], v[4:5]
	v_pk_mul_f32 v[6:7], v[48:49], s[34:35] op_sel_hi:[1,0]
	v_pk_fma_f32 v[84:85], v[42:43], s[14:15], v[24:25] op_sel:[0,0,1] op_sel_hi:[1,0,0] neg_lo:[0,0,1] neg_hi:[0,0,1]
	v_pk_fma_f32 v[80:81], v[46:47], s[18:19], v[6:7] op_sel:[0,0,1] op_sel_hi:[1,0,0] neg_lo:[0,0,1] neg_hi:[0,0,1]
	v_pk_fma_f32 v[82:83], v[46:47], s[18:19], v[6:7] op_sel:[0,0,1] op_sel_hi:[1,0,0]
	v_mov_b32_e32 v7, v81
	v_mov_b32_e32 v6, v82
	v_pk_fma_f32 v[86:87], v[42:43], s[14:15], v[24:25] op_sel:[0,0,1] op_sel_hi:[1,0,0]
	v_pk_add_f32 v[6:7], v[0:1], v[6:7]
	v_mov_b32_e32 v24, v86
	v_mov_b32_e32 v25, v85
	v_pk_add_f32 v[6:7], v[24:25], v[6:7]
	v_pk_mul_f32 v[24:25], v[40:41], s[22:23] op_sel_hi:[1,0]
	s_mov_b32 s22, 0xbeedf032
	v_pk_fma_f32 v[88:89], v[38:39], s[6:7], v[24:25] op_sel:[0,0,1] op_sel_hi:[1,0,0] neg_lo:[0,0,1] neg_hi:[0,0,1]
	v_pk_fma_f32 v[90:91], v[38:39], s[6:7], v[24:25] op_sel:[0,0,1] op_sel_hi:[1,0,0]
	v_mov_b32_e32 v25, v89
	v_mov_b32_e32 v24, v90
	v_pk_add_f32 v[6:7], v[24:25], v[6:7]
	v_pk_mul_f32 v[24:25], v[36:37], s[28:29] op_sel_hi:[1,0]
	v_pk_mul_f32 v[114:115], v[44:45], s[10:11] op_sel_hi:[1,0]
	v_pk_fma_f32 v[92:93], v[34:35], s[26:27], v[24:25] op_sel:[0,0,1] op_sel_hi:[1,0,0] neg_lo:[0,0,1] neg_hi:[0,0,1]
	v_pk_fma_f32 v[94:95], v[34:35], s[26:27], v[24:25] op_sel:[0,0,1] op_sel_hi:[1,0,0]
	v_mov_b32_e32 v25, v93
	v_mov_b32_e32 v24, v94
	v_pk_add_f32 v[6:7], v[24:25], v[6:7]
	v_pk_mul_f32 v[24:25], v[52:53], s[10:11] op_sel_hi:[1,0]
	v_pk_fma_f32 v[112:113], v[42:43], s[2:3], v[114:115] op_sel:[0,0,1] op_sel_hi:[1,0,0] neg_lo:[0,0,1] neg_hi:[0,0,1]
	v_pk_fma_f32 v[96:97], v[50:51], s[2:3], v[24:25] op_sel:[0,0,1] op_sel_hi:[1,0,0] neg_lo:[0,0,1] neg_hi:[0,0,1]
	v_pk_fma_f32 v[98:99], v[50:51], s[2:3], v[24:25] op_sel:[0,0,1] op_sel_hi:[1,0,0]
	v_add_u32_e32 v24, 0x1800, v132
	ds_read2_b64 v[24:27], v24 offset0:12 offset1:142
	v_mov_b32_e32 v32, v98
	v_mov_b32_e32 v33, v97
	v_pk_add_f32 v[32:33], v[32:33], v[6:7]
	v_pk_fma_f32 v[114:115], v[42:43], s[2:3], v[114:115] op_sel:[0,0,1] op_sel_hi:[1,0,0]
	s_waitcnt lgkmcnt(0)
	v_pk_add_f32 v[56:57], v[24:25], v[26:27] neg_lo:[0,1] neg_hi:[0,1]
	v_pk_add_f32 v[54:55], v[26:27], v[24:25]
	v_pk_mul_f32 v[6:7], v[56:57], s[28:29] op_sel_hi:[1,0]
	v_mov_b32_e32 v116, v114
	v_pk_fma_f32 v[104:105], v[54:55], s[26:27], v[6:7] op_sel:[0,0,1] op_sel_hi:[1,0,0] neg_lo:[0,0,1] neg_hi:[0,0,1]
	v_pk_fma_f32 v[106:107], v[54:55], s[26:27], v[6:7] op_sel:[0,0,1] op_sel_hi:[1,0,0]
	v_mov_b32_e32 v7, v105
	v_mov_b32_e32 v6, v106
	v_pk_add_f32 v[6:7], v[6:7], v[4:5]
	v_pk_mul_f32 v[4:5], v[56:57], s[30:31] op_sel_hi:[1,0]
	v_mov_b32_e32 v117, v113
	v_pk_fma_f32 v[100:101], v[54:55], s[12:13], v[4:5] op_sel:[0,0,1] op_sel_hi:[1,0,0] neg_lo:[0,0,1] neg_hi:[0,0,1]
	v_pk_fma_f32 v[102:103], v[54:55], s[12:13], v[4:5] op_sel:[0,0,1] op_sel_hi:[1,0,0]
	v_mov_b32_e32 v5, v101
	v_mov_b32_e32 v4, v102
	v_pk_add_f32 v[4:5], v[4:5], v[32:33]
	v_pk_mul_f32 v[32:33], v[48:49], s[22:23] op_sel_hi:[1,0]
	v_pk_mul_f32 v[118:119], v[40:41], s[34:35] op_sel_hi:[1,0]
	v_pk_fma_f32 v[108:109], v[46:47], s[26:27], v[32:33] op_sel:[0,0,1] op_sel_hi:[1,0,0] neg_lo:[0,0,1] neg_hi:[0,0,1]
	v_pk_fma_f32 v[110:111], v[46:47], s[26:27], v[32:33] op_sel:[0,0,1] op_sel_hi:[1,0,0]
	v_mov_b32_e32 v33, v109
	v_mov_b32_e32 v32, v110
	v_pk_add_f32 v[32:33], v[0:1], v[32:33]
	v_pk_mul_f32 v[122:123], v[36:37], s[8:9] op_sel_hi:[1,0]
	v_pk_add_f32 v[32:33], v[116:117], v[32:33]
	v_pk_fma_f32 v[116:117], v[38:39], s[18:19], v[118:119] op_sel:[0,0,1] op_sel_hi:[1,0,0] neg_lo:[0,0,1] neg_hi:[0,0,1]
	v_pk_fma_f32 v[118:119], v[38:39], s[18:19], v[118:119] op_sel:[0,0,1] op_sel_hi:[1,0,0]
	v_mov_b32_e32 v121, v117
	v_mov_b32_e32 v120, v118
	v_pk_add_f32 v[32:33], v[120:121], v[32:33]
	v_pk_fma_f32 v[120:121], v[34:35], s[6:7], v[122:123] op_sel:[0,0,1] op_sel_hi:[1,0,0] neg_lo:[0,0,1] neg_hi:[0,0,1]
	v_pk_fma_f32 v[122:123], v[34:35], s[6:7], v[122:123] op_sel:[0,0,1] op_sel_hi:[1,0,0]
	v_mov_b32_e32 v125, v121
	v_mov_b32_e32 v124, v122
	v_pk_mul_f32 v[126:127], v[52:53], s[30:31] op_sel_hi:[1,0]
	v_pk_add_f32 v[32:33], v[124:125], v[32:33]
	v_pk_fma_f32 v[124:125], v[50:51], s[12:13], v[126:127] op_sel:[0,0,1] op_sel_hi:[1,0,0] neg_lo:[0,0,1] neg_hi:[0,0,1]
	v_pk_fma_f32 v[126:127], v[50:51], s[12:13], v[126:127] op_sel:[0,0,1] op_sel_hi:[1,0,0]
	v_mov_b32_e32 v129, v125
	v_mov_b32_e32 v128, v126
	v_pk_mul_f32 v[130:131], v[56:57], s[16:17] op_sel_hi:[1,0]
	v_pk_add_f32 v[32:33], v[128:129], v[32:33]
	v_pk_fma_f32 v[128:129], v[54:55], s[14:15], v[130:131] op_sel:[0,0,1] op_sel_hi:[1,0,0] neg_lo:[0,0,1] neg_hi:[0,0,1]
	v_pk_fma_f32 v[130:131], v[54:55], s[14:15], v[130:131] op_sel:[0,0,1] op_sel_hi:[1,0,0]
	v_mov_b32_e32 v135, v129
	v_mov_b32_e32 v134, v130
	s_movk_i32 s3, 0x82
	v_pk_add_f32 v[32:33], v[134:135], v[32:33]
	v_cmp_gt_u32_e32 vcc, s3, v28
	s_barrier
	s_and_saveexec_b64 s[22:23], vcc
	s_cbranch_execz .LBB0_19
; %bb.18:
	v_pk_add_f32 v[2:3], v[0:1], v[2:3]
	v_mov_b32_e32 v109, v111
	v_pk_add_f32 v[2:3], v[2:3], v[16:17]
	v_mov_b32_e32 v113, v115
	;; [unrolled: 2-line block ×5, first 2 shown]
	v_pk_add_f32 v[2:3], v[2:3], v[24:25]
	s_movk_i32 s3, 0x60
	v_pk_add_f32 v[2:3], v[2:3], v[26:27]
	v_mov_b32_e32 v129, v131
	v_pk_add_f32 v[2:3], v[2:3], v[12:13]
	v_mad_u32_u24 v90, v28, s3, v132
	v_pk_add_f32 v[2:3], v[2:3], v[14:15]
	v_mov_b32_e32 v65, v69
	v_pk_add_f32 v[2:3], v[2:3], v[8:9]
	v_pk_add_f32 v[8:9], v[0:1], v[108:109]
	;; [unrolled: 1-line block ×6, first 2 shown]
	v_mov_b32_e32 v81, v83
	v_pk_add_f32 v[8:9], v[120:121], v[8:9]
	v_mov_b32_e32 v61, v67
	v_pk_add_f32 v[8:9], v[124:125], v[8:9]
	;; [unrolled: 2-line block ×3, first 2 shown]
	ds_write2_b64 v90, v[2:3], v[8:9] offset1:1
	v_pk_add_f32 v[2:3], v[0:1], v[64:65]
	v_pk_add_f32 v[8:9], v[0:1], v[80:81]
	;; [unrolled: 1-line block ×3, first 2 shown]
	v_mov_b32_e32 v59, v63
	v_pk_add_f32 v[8:9], v[84:85], v[8:9]
	v_mov_b32_e32 v89, v91
	v_pk_add_f32 v[2:3], v[58:59], v[2:3]
	v_mov_b32_e32 v71, v73
	v_pk_add_f32 v[8:9], v[88:89], v[8:9]
	v_mov_b32_e32 v93, v95
	v_pk_add_f32 v[2:3], v[70:71], v[2:3]
	v_mov_b32_e32 v77, v79
	v_pk_add_f32 v[8:9], v[92:93], v[8:9]
	v_mov_b32_e32 v97, v99
	v_pk_add_f32 v[2:3], v[76:77], v[2:3]
	v_mov_b32_e32 v105, v107
	v_pk_add_f32 v[8:9], v[96:97], v[8:9]
	v_mov_b32_e32 v101, v103
	v_pk_add_f32 v[2:3], v[104:105], v[2:3]
	v_pk_add_f32 v[8:9], v[100:101], v[8:9]
	ds_write2_b64 v90, v[2:3], v[8:9] offset0:2 offset1:3
	v_pk_mul_f32 v[2:3], v[48:49], s[8:9] op_sel_hi:[1,0]
	v_pk_mul_f32 v[12:13], v[44:45], s[24:25] op_sel_hi:[1,0]
	v_pk_fma_f32 v[8:9], v[46:47], s[6:7], v[2:3] op_sel:[0,0,1] op_sel_hi:[1,0,0] neg_lo:[0,0,1] neg_hi:[0,0,1]
	v_pk_fma_f32 v[2:3], v[46:47], s[6:7], v[2:3] op_sel:[0,0,1] op_sel_hi:[1,0,0]
	v_mov_b32_e32 v10, v8
	v_mov_b32_e32 v11, v3
	v_pk_fma_f32 v[14:15], v[42:43], s[12:13], v[12:13] op_sel:[0,0,1] op_sel_hi:[1,0,0] neg_lo:[0,0,1] neg_hi:[0,0,1]
	v_pk_fma_f32 v[12:13], v[42:43], s[12:13], v[12:13] op_sel:[0,0,1] op_sel_hi:[1,0,0]
	v_pk_add_f32 v[10:11], v[0:1], v[10:11]
	v_mov_b32_e32 v16, v14
	v_mov_b32_e32 v17, v13
	v_pk_add_f32 v[10:11], v[16:17], v[10:11]
	v_pk_mul_f32 v[16:17], v[40:41], s[28:29] op_sel_hi:[1,0]
	s_mov_b32 s24, 0x3e750f2a
	v_pk_fma_f32 v[18:19], v[38:39], s[26:27], v[16:17] op_sel:[0,0,1] op_sel_hi:[1,0,0] neg_lo:[0,0,1] neg_hi:[0,0,1]
	v_pk_fma_f32 v[16:17], v[38:39], s[26:27], v[16:17] op_sel:[0,0,1] op_sel_hi:[1,0,0]
	v_mov_b32_e32 v20, v18
	v_mov_b32_e32 v21, v17
	v_pk_add_f32 v[10:11], v[20:21], v[10:11]
	v_pk_mul_f32 v[20:21], v[36:37], s[34:35] op_sel_hi:[1,0]
	s_mov_b32 s34, 0x3f52af12
	v_pk_fma_f32 v[22:23], v[34:35], s[18:19], v[20:21] op_sel:[0,0,1] op_sel_hi:[1,0,0] neg_lo:[0,0,1] neg_hi:[0,0,1]
	v_pk_fma_f32 v[20:21], v[34:35], s[18:19], v[20:21] op_sel:[0,0,1] op_sel_hi:[1,0,0]
	v_mov_b32_e32 v24, v22
	v_mov_b32_e32 v25, v21
	v_pk_add_f32 v[10:11], v[24:25], v[10:11]
	v_pk_mul_f32 v[24:25], v[52:53], s[24:25] op_sel_hi:[1,0]
	v_pk_mul_f32 v[68:69], v[44:45], s[20:21] op_sel_hi:[1,0]
	v_pk_fma_f32 v[26:27], v[50:51], s[14:15], v[24:25] op_sel:[0,0,1] op_sel_hi:[1,0,0] neg_lo:[0,0,1] neg_hi:[0,0,1]
	v_pk_fma_f32 v[24:25], v[50:51], s[14:15], v[24:25] op_sel:[0,0,1] op_sel_hi:[1,0,0]
	v_mov_b32_e32 v58, v26
	v_mov_b32_e32 v59, v25
	v_pk_add_f32 v[10:11], v[58:59], v[10:11]
	v_pk_mul_f32 v[58:59], v[56:57], s[34:35] op_sel_hi:[1,0]
	v_pk_fma_f32 v[70:71], v[42:43], s[18:19], v[68:69] op_sel:[0,0,1] op_sel_hi:[1,0,0] neg_lo:[0,0,1] neg_hi:[0,0,1]
	v_pk_fma_f32 v[60:61], v[54:55], s[2:3], v[58:59] op_sel:[0,0,1] op_sel_hi:[1,0,0] neg_lo:[0,0,1] neg_hi:[0,0,1]
	v_pk_fma_f32 v[58:59], v[54:55], s[2:3], v[58:59] op_sel:[0,0,1] op_sel_hi:[1,0,0]
	v_mov_b32_e32 v62, v60
	v_mov_b32_e32 v63, v59
	v_pk_add_f32 v[10:11], v[62:63], v[10:11]
	v_pk_mul_f32 v[62:63], v[48:49], s[30:31] op_sel_hi:[1,0]
	v_pk_fma_f32 v[68:69], v[42:43], s[18:19], v[68:69] op_sel:[0,0,1] op_sel_hi:[1,0,0]
	v_pk_fma_f32 v[64:65], v[46:47], s[12:13], v[62:63] op_sel:[0,0,1] op_sel_hi:[1,0,0] neg_lo:[0,0,1] neg_hi:[0,0,1]
	v_pk_fma_f32 v[62:63], v[46:47], s[12:13], v[62:63] op_sel:[0,0,1] op_sel_hi:[1,0,0]
	v_mov_b32_e32 v66, v64
	v_mov_b32_e32 v67, v63
	v_pk_add_f32 v[66:67], v[0:1], v[66:67]
	v_mov_b32_e32 v72, v70
	v_mov_b32_e32 v73, v69
	v_pk_add_f32 v[66:67], v[72:73], v[66:67]
	v_pk_mul_f32 v[72:73], v[40:41], s[10:11] op_sel_hi:[1,0]
	v_pk_mul_f32 v[44:45], v[44:45], s[28:29] op_sel_hi:[1,0]
	v_pk_fma_f32 v[74:75], v[38:39], s[2:3], v[72:73] op_sel:[0,0,1] op_sel_hi:[1,0,0] neg_lo:[0,0,1] neg_hi:[0,0,1]
	v_pk_fma_f32 v[72:73], v[38:39], s[2:3], v[72:73] op_sel:[0,0,1] op_sel_hi:[1,0,0]
	v_mov_b32_e32 v76, v74
	v_mov_b32_e32 v77, v73
	v_pk_add_f32 v[66:67], v[76:77], v[66:67]
	v_pk_mul_f32 v[76:77], v[36:37], s[24:25] op_sel_hi:[1,0]
	v_pk_mul_f32 v[40:41], v[40:41], s[30:31] op_sel_hi:[1,0]
	v_pk_fma_f32 v[78:79], v[34:35], s[14:15], v[76:77] op_sel:[0,0,1] op_sel_hi:[1,0,0] neg_lo:[0,0,1] neg_hi:[0,0,1]
	v_pk_fma_f32 v[76:77], v[34:35], s[14:15], v[76:77] op_sel:[0,0,1] op_sel_hi:[1,0,0]
	;; [unrolled: 7-line block ×3, first 2 shown]
	v_mov_b32_e32 v84, v82
	v_mov_b32_e32 v85, v81
	v_pk_add_f32 v[66:67], v[84:85], v[66:67]
	v_pk_mul_f32 v[84:85], v[56:57], s[8:9] op_sel_hi:[1,0]
	v_mov_b32_e32 v63, v65
	v_pk_fma_f32 v[86:87], v[54:55], s[6:7], v[84:85] op_sel:[0,0,1] op_sel_hi:[1,0,0] neg_lo:[0,0,1] neg_hi:[0,0,1]
	v_pk_fma_f32 v[84:85], v[54:55], s[6:7], v[84:85] op_sel:[0,0,1] op_sel_hi:[1,0,0]
	v_mov_b32_e32 v88, v86
	v_mov_b32_e32 v89, v85
	v_pk_add_f32 v[66:67], v[88:89], v[66:67]
	ds_write2_b64 v90, v[10:11], v[66:67] offset0:4 offset1:5
	v_pk_mul_f32 v[10:11], v[48:49], s[16:17] op_sel_hi:[1,0]
	v_pk_fma_f32 v[66:67], v[42:43], s[26:27], v[44:45] op_sel:[0,0,1] op_sel_hi:[1,0,0] neg_lo:[0,0,1] neg_hi:[0,0,1]
	v_pk_fma_f32 v[48:49], v[46:47], s[14:15], v[10:11] op_sel:[0,0,1] op_sel_hi:[1,0,0] neg_lo:[0,0,1] neg_hi:[0,0,1]
	v_pk_fma_f32 v[10:11], v[46:47], s[14:15], v[10:11] op_sel:[0,0,1] op_sel_hi:[1,0,0]
	v_mov_b32_e32 v46, v48
	v_mov_b32_e32 v47, v11
	v_pk_fma_f32 v[42:43], v[42:43], s[26:27], v[44:45] op_sel:[0,0,1] op_sel_hi:[1,0,0]
	v_pk_add_f32 v[46:47], v[0:1], v[46:47]
	v_mov_b32_e32 v44, v66
	v_mov_b32_e32 v45, v43
	v_pk_add_f32 v[44:45], v[44:45], v[46:47]
	v_pk_fma_f32 v[46:47], v[38:39], s[12:13], v[40:41] op_sel:[0,0,1] op_sel_hi:[1,0,0] neg_lo:[0,0,1] neg_hi:[0,0,1]
	v_pk_fma_f32 v[38:39], v[38:39], s[12:13], v[40:41] op_sel:[0,0,1] op_sel_hi:[1,0,0]
	v_mov_b32_e32 v40, v46
	v_mov_b32_e32 v41, v39
	v_pk_add_f32 v[40:41], v[40:41], v[44:45]
	v_pk_fma_f32 v[44:45], v[34:35], s[2:3], v[36:37] op_sel:[0,0,1] op_sel_hi:[1,0,0] neg_lo:[0,0,1] neg_hi:[0,0,1]
	v_pk_fma_f32 v[34:35], v[34:35], s[2:3], v[36:37] op_sel:[0,0,1] op_sel_hi:[1,0,0]
	v_mov_b32_e32 v36, v44
	v_mov_b32_e32 v37, v35
	v_pk_add_f32 v[36:37], v[36:37], v[40:41]
	v_pk_mul_f32 v[40:41], v[52:53], s[8:9] op_sel_hi:[1,0]
	v_mov_b32_e32 v11, v49
	v_pk_fma_f32 v[52:53], v[50:51], s[6:7], v[40:41] op_sel:[0,0,1] op_sel_hi:[1,0,0] neg_lo:[0,0,1] neg_hi:[0,0,1]
	v_pk_fma_f32 v[40:41], v[50:51], s[6:7], v[40:41] op_sel:[0,0,1] op_sel_hi:[1,0,0]
	v_pk_add_f32 v[10:11], v[0:1], v[10:11]
	v_mov_b32_e32 v43, v67
	v_mov_b32_e32 v50, v52
	;; [unrolled: 1-line block ×3, first 2 shown]
	v_pk_add_f32 v[10:11], v[42:43], v[10:11]
	v_mov_b32_e32 v39, v47
	v_pk_add_f32 v[36:37], v[50:51], v[36:37]
	v_pk_mul_f32 v[50:51], v[56:57], s[20:21] op_sel_hi:[1,0]
	v_pk_add_f32 v[10:11], v[38:39], v[10:11]
	v_mov_b32_e32 v35, v45
	v_pk_fma_f32 v[56:57], v[54:55], s[18:19], v[50:51] op_sel:[0,0,1] op_sel_hi:[1,0,0] neg_lo:[0,0,1] neg_hi:[0,0,1]
	v_pk_fma_f32 v[50:51], v[54:55], s[18:19], v[50:51] op_sel:[0,0,1] op_sel_hi:[1,0,0]
	v_pk_add_f32 v[10:11], v[34:35], v[10:11]
	v_mov_b32_e32 v41, v53
	v_mov_b32_e32 v54, v56
	;; [unrolled: 1-line block ×3, first 2 shown]
	v_pk_add_f32 v[10:11], v[40:41], v[10:11]
	v_mov_b32_e32 v51, v57
	v_pk_add_f32 v[36:37], v[54:55], v[36:37]
	v_pk_add_f32 v[10:11], v[50:51], v[10:11]
	v_mov_b32_e32 v3, v9
	ds_write2_b64 v90, v[36:37], v[10:11] offset0:6 offset1:7
	v_pk_add_f32 v[10:11], v[0:1], v[62:63]
	v_mov_b32_e32 v69, v71
	v_pk_add_f32 v[0:1], v[0:1], v[2:3]
	v_mov_b32_e32 v13, v15
	;; [unrolled: 2-line block ×10, first 2 shown]
	v_pk_add_f32 v[10:11], v[84:85], v[10:11]
	v_pk_add_f32 v[0:1], v[58:59], v[0:1]
	ds_write2_b64 v90, v[10:11], v[0:1] offset0:8 offset1:9
	ds_write2_b64 v90, v[4:5], v[6:7] offset0:10 offset1:11
	ds_write_b64 v90, v[32:33] offset:96
.LBB0_19:
	s_or_b64 exec, exec, s[22:23]
	s_movk_i32 s2, 0x4f
	v_mul_lo_u16_sdwa v0, v28, s2 dst_sel:DWORD dst_unused:UNUSED_PAD src0_sel:BYTE_0 src1_sel:DWORD
	v_lshrrev_b16_e32 v63, 10, v0
	v_mul_lo_u16_e32 v0, 13, v63
	v_sub_u16_e32 v68, v28, v0
	v_mov_b32_e32 v0, 9
	v_mul_u32_u24_sdwa v0, v68, v0 dst_sel:DWORD dst_unused:UNUSED_PAD src0_sel:BYTE_0 src1_sel:DWORD
	v_lshlrev_b32_e32 v20, 3, v0
	s_waitcnt lgkmcnt(0)
	s_barrier
	global_load_dwordx4 v[0:3], v20, s[4:5] offset:48
	global_load_dwordx2 v[46:47], v20, s[4:5] offset:64
	global_load_dwordx4 v[8:11], v20, s[4:5]
	global_load_dwordx4 v[12:15], v20, s[4:5] offset:16
	global_load_dwordx4 v[16:19], v20, s[4:5] offset:32
	ds_read2_b64 v[20:23], v132 offset1:169
	ds_read2_b64 v[24:27], v29 offset0:82 offset1:251
	v_add_u32_e32 v29, 0x1400, v132
	ds_read2_b64 v[34:37], v133 offset0:72 offset1:241
	v_add_u32_e32 v42, 0x1e00, v132
	ds_read2_b64 v[38:41], v29 offset0:36 offset1:205
	ds_read2_b64 v[42:45], v42 offset0:54 offset1:223
	s_mov_b32 s2, 0x3f737871
	s_mov_b32 s3, 0xbf737871
	;; [unrolled: 1-line block ×5, first 2 shown]
	s_waitcnt lgkmcnt(0)
	s_barrier
	s_waitcnt vmcnt(4)
	v_mov_b32_e32 v48, v3
	s_waitcnt vmcnt(3)
	v_pk_mul_f32 v[50:51], v[36:37], v[46:47] op_sel:[0,1]
	s_waitcnt vmcnt(2)
	v_pk_mul_f32 v[52:53], v[8:9], v[22:23] op_sel_hi:[1,0]
	v_pk_mul_f32 v[54:55], v[10:11], v[24:25] op_sel:[0,1]
	s_waitcnt vmcnt(1)
	v_pk_mul_f32 v[56:57], v[12:13], v[26:27] op_sel_hi:[1,0]
	;; [unrolled: 3-line block ×3, first 2 shown]
	v_mov_b32_e32 v62, v19
	v_pk_mul_f32 v[64:65], v[44:45], v[0:1] op_sel_hi:[1,0]
	v_pk_mul_f32 v[48:49], v[34:35], v[48:49] op_sel_hi:[1,0]
	v_pk_fma_f32 v[66:67], v[36:37], v[46:47], v[50:51] op_sel:[0,0,1] op_sel_hi:[1,1,0] neg_lo:[0,0,1] neg_hi:[0,0,1]
	v_pk_fma_f32 v[36:37], v[36:37], v[46:47], v[50:51] op_sel:[0,0,1] op_sel_hi:[1,0,0]
	v_pk_fma_f32 v[46:47], v[8:9], v[22:23], v[52:53] op_sel:[0,1,1] op_sel_hi:[1,1,0] neg_lo:[1,0,0] neg_hi:[1,0,0]
	v_pk_fma_f32 v[8:9], v[8:9], v[22:23], v[52:53] op_sel:[0,1,1] op_sel_hi:[1,1,0]
	v_pk_fma_f32 v[22:23], v[10:11], v[24:25], v[54:55] op_sel:[0,0,1] op_sel_hi:[1,0,0]
	v_pk_fma_f32 v[10:11], v[10:11], v[24:25], v[54:55] op_sel:[0,0,1] op_sel_hi:[1,0,0] neg_lo:[0,0,1] neg_hi:[0,0,1]
	v_pk_fma_f32 v[24:25], v[12:13], v[26:27], v[56:57] op_sel:[0,1,1] op_sel_hi:[1,1,0] neg_lo:[1,0,0] neg_hi:[1,0,0]
	v_pk_fma_f32 v[12:13], v[12:13], v[26:27], v[56:57] op_sel:[0,1,1] op_sel_hi:[1,1,0]
	v_pk_fma_f32 v[26:27], v[14:15], v[38:39], v[58:59] op_sel:[0,0,1] op_sel_hi:[1,0,0]
	v_pk_fma_f32 v[14:15], v[14:15], v[38:39], v[58:59] op_sel:[0,0,1] op_sel_hi:[1,0,0] neg_lo:[0,0,1] neg_hi:[0,0,1]
	v_pk_fma_f32 v[38:39], v[16:17], v[40:41], v[60:61] op_sel:[0,1,1] op_sel_hi:[1,1,0] neg_lo:[1,0,0] neg_hi:[1,0,0]
	v_pk_fma_f32 v[16:17], v[16:17], v[40:41], v[60:61] op_sel:[0,1,1] op_sel_hi:[1,1,0]
	v_pk_mul_f32 v[40:41], v[42:43], v[62:63] op_sel_hi:[1,0]
	v_pk_fma_f32 v[50:51], v[44:45], v[0:1], v[64:65] op_sel:[0,1,1] op_sel_hi:[1,1,0] neg_lo:[1,0,0] neg_hi:[1,0,0]
	v_pk_fma_f32 v[0:1], v[44:45], v[0:1], v[64:65] op_sel:[0,1,1] op_sel_hi:[1,1,0]
	v_pk_fma_f32 v[44:45], v[34:35], v[2:3], v[48:49] op_sel:[0,0,1] op_sel_hi:[1,1,0] neg_lo:[0,0,1] neg_hi:[0,0,1]
	v_pk_fma_f32 v[2:3], v[34:35], v[2:3], v[48:49] op_sel:[0,0,1] op_sel_hi:[1,0,0]
	v_mov_b32_e32 v11, v23
	v_mov_b32_e32 v15, v27
	v_pk_fma_f32 v[22:23], v[42:43], v[18:19], v[40:41] op_sel:[0,0,1] op_sel_hi:[1,0,0]
	v_pk_fma_f32 v[18:19], v[42:43], v[18:19], v[40:41] op_sel:[0,0,1] op_sel_hi:[1,0,0] neg_lo:[0,0,1] neg_hi:[0,0,1]
	v_mov_b32_e32 v45, v3
	v_pk_add_f32 v[2:3], v[20:21], v[10:11]
	v_mov_b32_e32 v19, v23
	v_pk_add_f32 v[52:53], v[10:11], v[44:45]
	v_pk_add_f32 v[2:3], v[2:3], v[14:15]
	v_mov_b32_e32 v34, v37
	v_mov_b32_e32 v35, v66
	;; [unrolled: 1-line block ×7, first 2 shown]
	v_pk_add_f32 v[22:23], v[14:15], v[10:11] neg_lo:[0,1] neg_hi:[0,1]
	v_pk_add_f32 v[48:49], v[14:15], v[18:19] neg_lo:[0,1] neg_hi:[0,1]
	;; [unrolled: 1-line block ×4, first 2 shown]
	v_pk_fma_f32 v[52:53], v[52:53], 0.5, v[20:21] op_sel_hi:[1,0,1] neg_lo:[1,0,0] neg_hi:[1,0,0]
	v_pk_add_f32 v[2:3], v[2:3], v[18:19]
	v_mov_b32_e32 v24, v25
	v_mov_b32_e32 v25, v12
	;; [unrolled: 1-line block ×3, first 2 shown]
	v_pk_add_f32 v[42:43], v[8:9], v[12:13]
	v_pk_add_f32 v[46:47], v[16:17], v[12:13] neg_lo:[0,1] neg_hi:[0,1]
	v_pk_mul_f32 v[56:57], v[50:51], s[6:7] op_sel_hi:[1,0]
	v_pk_add_f32 v[22:23], v[22:23], v[54:55]
	v_pk_add_f32 v[54:55], v[2:3], v[44:45]
	v_pk_fma_f32 v[2:3], v[48:49], s[2:3], v[52:53] op_sel:[1,0,0] op_sel_hi:[0,0,1] neg_lo:[1,0,0] neg_hi:[1,0,0]
	v_pk_fma_f32 v[52:53], v[48:49], s[2:3], v[52:53] op_sel:[1,0,0] op_sel_hi:[0,0,1]
	v_pk_add_f32 v[12:13], v[12:13], v[34:35]
	v_mov_b32_e32 v27, v8
	v_pk_add_f32 v[58:59], v[2:3], v[56:57] op_sel:[0,1] op_sel_hi:[1,0]
	v_pk_add_f32 v[52:53], v[52:53], v[56:57] op_sel:[0,1] op_sel_hi:[1,0] neg_lo:[0,1] neg_hi:[0,1]
	v_pk_fma_f32 v[8:9], v[12:13], 0.5, v[8:9] op_sel_hi:[1,0,1] neg_lo:[1,0,0] neg_hi:[1,0,0]
	v_pk_add_f32 v[12:13], v[0:1], v[34:35] neg_lo:[0,1] neg_hi:[0,1]
	v_mov_b32_e32 v67, v37
	v_mov_b32_e32 v36, v39
	;; [unrolled: 1-line block ×6, first 2 shown]
	v_pk_add_f32 v[12:13], v[46:47], v[12:13]
	v_pk_add_f32 v[46:47], v[14:15], v[18:19]
	v_pk_add_f32 v[40:41], v[36:37], v[38:39] neg_lo:[0,1] neg_hi:[0,1]
	v_pk_fma_f32 v[56:57], v[22:23], s[8:9], v[2:3] op_sel_hi:[1,0,1]
	v_pk_add_f32 v[2:3], v[24:25], v[66:67] neg_lo:[0,1] neg_hi:[0,1]
	v_pk_fma_f32 v[20:21], v[46:47], 0.5, v[20:21] op_sel_hi:[1,0,1] neg_lo:[1,0,0] neg_hi:[1,0,0]
	v_pk_add_f32 v[10:11], v[10:11], v[14:15] neg_lo:[0,1] neg_hi:[0,1]
	v_pk_add_f32 v[14:15], v[36:37], v[38:39]
	v_pk_add_f32 v[24:25], v[24:25], v[36:37] neg_lo:[0,1] neg_hi:[0,1]
	v_pk_mul_f32 v[36:37], v[50:51], s[2:3] op_sel_hi:[1,0]
	v_pk_add_f32 v[18:19], v[44:45], v[18:19] neg_lo:[0,1] neg_hi:[0,1]
	v_pk_add_f32 v[16:17], v[42:43], v[16:17]
	v_pk_add_f32 v[18:19], v[10:11], v[18:19]
	v_pk_add_f32 v[10:11], v[20:21], v[36:37] op_sel:[0,1] op_sel_hi:[1,0] neg_lo:[0,1] neg_hi:[0,1]
	v_pk_add_f32 v[20:21], v[20:21], v[36:37] op_sel:[0,1] op_sel_hi:[1,0]
	v_pk_add_f32 v[0:1], v[16:17], v[0:1]
	v_pk_fma_f32 v[36:37], v[48:49], s[6:7], v[10:11] op_sel:[1,0,0] op_sel_hi:[0,0,1] neg_lo:[1,0,0] neg_hi:[1,0,0]
	v_pk_fma_f32 v[20:21], v[48:49], s[6:7], v[20:21] op_sel:[1,0,0] op_sel_hi:[0,0,1]
	v_pk_add_f32 v[16:17], v[0:1], v[66:67] op_sel:[1,0] op_sel_hi:[0,1]
	v_pk_fma_f32 v[0:1], v[40:41], s[2:3], v[8:9] op_sel_hi:[1,0,1]
	v_pk_fma_f32 v[8:9], v[40:41], s[2:3], v[8:9] op_sel_hi:[1,0,1] neg_lo:[1,0,0] neg_hi:[1,0,0]
	v_mov_b32_e32 v10, v20
	v_mov_b32_e32 v11, v37
	v_pk_fma_f32 v[34:35], v[2:3], s[6:7], v[0:1] op_sel_hi:[1,0,1] neg_lo:[1,0,0] neg_hi:[1,0,0]
	v_pk_fma_f32 v[8:9], v[2:3], s[6:7], v[8:9] op_sel_hi:[1,0,1]
	v_pk_fma_f32 v[14:15], v[14:15], 0.5, v[26:27] op_sel_hi:[1,0,1] neg_lo:[1,0,0] neg_hi:[1,0,0]
	v_pk_mul_f32 v[26:27], v[40:41], s[6:7] op_sel_hi:[1,0]
	v_pk_fma_f32 v[40:41], v[18:19], s[8:9], v[10:11] op_sel_hi:[1,0,1]
	v_pk_mul_f32 v[2:3], v[2:3], s[2:3] op_sel_hi:[1,0]
	v_pk_add_f32 v[10:11], v[66:67], v[38:39] neg_lo:[0,1] neg_hi:[0,1]
	v_mov_b32_e32 v1, v35
	v_pk_add_f32 v[24:25], v[24:25], v[10:11]
	v_pk_add_f32 v[10:11], v[14:15], v[2:3] op_sel:[0,1] op_sel_hi:[1,0] neg_lo:[0,1] neg_hi:[0,1]
	v_pk_add_f32 v[2:3], v[14:15], v[2:3] op_sel:[0,1] op_sel_hi:[1,0]
	v_pk_add_f32 v[14:15], v[10:11], v[26:27] op_sel:[0,1] op_sel_hi:[1,0] neg_lo:[0,1] neg_hi:[0,1]
	v_pk_add_f32 v[26:27], v[2:3], v[26:27] op_sel:[0,1] op_sel_hi:[1,0]
	v_mov_b32_e32 v3, v15
	v_mov_b32_e32 v2, v26
	v_pk_fma_f32 v[2:3], v[24:25], s[8:9], v[2:3] op_sel_hi:[1,0,1]
	v_mov_b32_e32 v35, v9
	v_mov_b32_e32 v0, v8
	v_pk_mul_f32 v[10:11], v[2:3], s[6:7] op_sel_hi:[1,0]
	v_pk_fma_f32 v[8:9], v[12:13], s[8:9], v[34:35] op_sel_hi:[1,0,1]
	v_pk_fma_f32 v[42:43], v[12:13], s[8:9], v[0:1] op_sel_hi:[1,0,1]
	v_pk_fma_f32 v[38:39], v[2:3], s[10:11], v[10:11] op_sel:[0,0,1] op_sel_hi:[1,0,0] neg_lo:[0,0,1] neg_hi:[0,0,1]
	v_pk_fma_f32 v[44:45], v[2:3], s[10:11], v[10:11] op_sel:[0,0,1] op_sel_hi:[1,0,0]
	v_pk_mul_f32 v[10:11], v[8:9], s[2:3] op_sel_hi:[1,0]
	v_mov_b32_e32 v15, v27
	v_mov_b32_e32 v59, v53
	v_pk_fma_f32 v[12:13], v[8:9], s[8:9], v[10:11] op_sel:[0,0,1] op_sel_hi:[1,0,0] neg_lo:[0,0,1] neg_hi:[0,0,1]
	v_pk_fma_f32 v[8:9], v[8:9], s[8:9], v[10:11] op_sel:[0,0,1] op_sel_hi:[1,0,0]
	v_pk_mul_f32 v[10:11], v[42:43], s[8:9] op_sel_hi:[1,0]
	v_pk_fma_f32 v[14:15], v[24:25], s[8:9], v[14:15] op_sel_hi:[1,0,1]
	v_mov_b32_e32 v45, v39
	v_pk_fma_f32 v[38:39], v[22:23], s[8:9], v[58:59] op_sel_hi:[1,0,1]
	v_mov_b32_e32 v35, v12
	v_pk_fma_f32 v[12:13], v[42:43], s[2:3], v[10:11] op_sel:[0,0,1] op_sel_hi:[1,1,0] neg_lo:[0,0,1] neg_hi:[0,0,1]
	v_mov_b32_e32 v37, v21
	s_mov_b32 s2, 0xbf167918
	s_mov_b32 s3, s6
	v_pk_mul_f32 v[20:21], v[14:15], s[10:11] op_sel_hi:[1,0]
	v_mov_b32_e32 v23, 3
	v_mov_b32_e32 v34, v9
	v_pk_fma_f32 v[18:19], v[18:19], s[8:9], v[36:37] op_sel_hi:[1,0,1]
	v_pk_fma_f32 v[20:21], v[14:15], s[2:3], v[20:21] op_sel:[0,0,1] op_sel_hi:[1,1,0] neg_lo:[0,0,1] neg_hi:[0,0,1]
	v_mul_u32_u24_e32 v22, 0x410, v63
	v_lshlrev_b32_sdwa v23, v23, v68 dst_sel:DWORD dst_unused:UNUSED_PAD src0_sel:DWORD src1_sel:BYTE_0
	v_pk_add_f32 v[0:1], v[54:55], v[16:17]
	v_pk_add_f32 v[2:3], v[40:41], v[44:45]
	;; [unrolled: 1-line block ×4, first 2 shown]
	v_pk_add_f32 v[12:13], v[56:57], v[12:13] neg_lo:[0,1] neg_hi:[0,1]
	v_pk_add_f32 v[14:15], v[18:19], v[20:21] op_sel:[0,1] op_sel_hi:[1,0] neg_lo:[0,1] neg_hi:[0,1]
	v_add3_u32 v24, 0, v22, v23
	v_pk_add_f32 v[20:21], v[18:19], v[20:21] op_sel:[0,1] op_sel_hi:[1,0]
	v_pk_add_f32 v[22:23], v[54:55], v[16:17] neg_lo:[0,1] neg_hi:[0,1]
	v_pk_add_f32 v[16:17], v[40:41], v[44:45] neg_lo:[0,1] neg_hi:[0,1]
	;; [unrolled: 1-line block ×3, first 2 shown]
	ds_write2_b64 v24, v[0:1], v[2:3] offset1:13
	ds_write2_b64 v24, v[8:9], v[10:11] offset0:26 offset1:39
	ds_write2_b64 v24, v[20:21], v[22:23] offset0:52 offset1:65
	;; [unrolled: 1-line block ×4, first 2 shown]
	s_waitcnt lgkmcnt(0)
	s_barrier
	s_and_saveexec_b64 s[2:3], vcc
	s_cbranch_execz .LBB0_21
; %bb.20:
	v_add_u32_e32 v4, 0x800, v132
	ds_read2_b64 v[8:11], v4 offset0:4 offset1:134
	v_add_u32_e32 v4, 0x1000, v132
	ds_read2_b64 v[20:23], v4 offset0:8 offset1:138
	;; [unrolled: 2-line block ×4, first 2 shown]
	v_add_u32_e32 v4, 0x2800, v132
	ds_read2_b64 v[0:3], v132 offset1:130
	ds_read2_b64 v[4:7], v4 offset0:20 offset1:150
	ds_read_b64 v[32:33], v132 offset:12480
.LBB0_21:
	s_or_b64 exec, exec, s[2:3]
	s_waitcnt lgkmcnt(0)
	s_barrier
	s_and_saveexec_b64 s[2:3], vcc
	s_cbranch_execz .LBB0_23
; %bb.22:
	v_add_u32_e32 v24, 0xffffff7e, v28
	v_cndmask_b32_e32 v24, v24, v28, vcc
	v_mul_i32_i24_e32 v24, 12, v24
	v_mov_b32_e32 v25, 0
	v_lshl_add_u64 v[24:25], v[24:25], 3, s[4:5]
	global_load_dwordx4 v[50:53], v[24:25], off offset:936
	global_load_dwordx4 v[36:39], v[24:25], off offset:1016
	;; [unrolled: 1-line block ×6, first 2 shown]
	v_mov_b32_e32 v24, v3
	v_mov_b32_e32 v26, v11
	;; [unrolled: 1-line block ×7, first 2 shown]
	s_mov_b32 s18, 0x3f116cb1
	s_mov_b32 s19, 0xbf52af12
	;; [unrolled: 1-line block ×34, first 2 shown]
	v_add_u32_e32 v29, 0x800, v132
	s_mov_b32 s45, 0x3e750f2a
	s_mov_b32 s44, s34
	;; [unrolled: 1-line block ×7, first 2 shown]
	s_waitcnt vmcnt(5)
	v_pk_mul_f32 v[72:73], v[2:3], v[50:51] op_sel:[0,1] op_sel_hi:[1,0]
	v_mov_b32_e32 v68, v53
	v_mov_b32_e32 v69, v52
	v_pk_mul_f32 v[24:25], v[24:25], v[50:51] op_sel:[0,1] op_sel_hi:[1,0]
	s_waitcnt vmcnt(4)
	v_pk_mul_f32 v[70:71], v[32:33], v[38:39] op_sel:[1,0]
	v_pk_mul_f32 v[74:75], v[6:7], v[36:37] op_sel:[1,0]
	s_waitcnt vmcnt(3)
	v_pk_mul_f32 v[76:77], v[26:27], v[54:55] op_sel:[0,1] op_sel_hi:[1,0]
	s_waitcnt vmcnt(2)
	v_pk_mul_f32 v[78:79], v[4:5], v[48:49] op_sel:[1,0]
	v_pk_mul_f32 v[80:81], v[10:11], v[54:55] op_sel:[0,1] op_sel_hi:[1,0]
	v_pk_mul_f32 v[82:83], v[40:41], v[56:57] op_sel_hi:[0,1]
	v_pk_mul_f32 v[84:85], v[14:15], v[46:47] op_sel:[1,0]
	s_waitcnt vmcnt(1)
	v_pk_mul_f32 v[86:87], v[42:43], v[58:59] op_sel_hi:[0,1]
	v_pk_mul_f32 v[90:91], v[44:45], v[60:61] op_sel_hi:[0,1]
	s_waitcnt vmcnt(0)
	v_pk_mul_f32 v[66:67], v[66:67], v[62:63] op_sel_hi:[0,1]
	v_mov_b32_e32 v72, v73
	v_pk_mul_f32 v[88:89], v[12:13], v[64:65] op_sel:[1,0]
	v_pk_fma_f32 v[26:27], v[2:3], v[50:51], v[24:25] neg_lo:[0,0,1] neg_hi:[0,0,1]
	v_pk_mul_f32 v[92:93], v[34:35], v[68:69]
	v_pk_mul_f32 v[94:95], v[8:9], v[68:69]
	v_pk_fma_f32 v[24:25], v[10:11], v[54:55], v[76:77] neg_lo:[0,0,1] neg_hi:[0,0,1]
	v_mov_b32_e32 v76, v81
	v_pk_fma_f32 v[34:35], v[32:33], v[38:39], v[70:71] op_sel:[0,0,1] op_sel_hi:[0,1,0] neg_lo:[0,0,1] neg_hi:[0,0,1]
	v_pk_fma_f32 v[32:33], v[32:33], v[38:39], v[70:71] op_sel:[0,0,1] op_sel_hi:[0,1,0]
	v_pk_fma_f32 v[38:39], v[6:7], v[36:37], v[74:75] op_sel:[0,0,1] op_sel_hi:[0,1,0] neg_lo:[0,0,1] neg_hi:[0,0,1]
	v_pk_fma_f32 v[40:41], v[6:7], v[36:37], v[74:75] op_sel:[0,0,1] op_sel_hi:[0,1,0]
	;; [unrolled: 2-line block ×8, first 2 shown]
	v_pk_fma_f32 v[58:59], v[2:3], v[50:51], v[72:73] op_sel:[0,1,0] op_sel_hi:[1,0,1]
	v_pk_fma_f32 v[20:21], v[12:13], v[64:65], v[88:89] op_sel:[0,0,1] op_sel_hi:[1,1,0] neg_lo:[0,0,1] neg_hi:[0,0,1]
	v_pk_fma_f32 v[12:13], v[12:13], v[64:65], v[88:89] op_sel:[0,0,1] op_sel_hi:[0,1,0]
	v_pk_fma_f32 v[50:51], v[8:9], v[52:53], v[92:93] neg_lo:[0,0,1] neg_hi:[0,0,1]
	v_mov_b32_e32 v2, v95
	v_pk_fma_f32 v[52:53], v[10:11], v[54:55], v[76:77] op_sel:[0,1,0] op_sel_hi:[1,0,1]
	v_pk_add_f32 v[64:65], v[26:27], v[34:35] neg_lo:[0,1] neg_hi:[0,1]
	v_pk_add_f32 v[66:67], v[24:25], v[42:43] neg_lo:[0,1] neg_hi:[0,1]
	v_mov_b32_e32 v19, v17
	v_pk_add_f32 v[90:91], v[26:27], v[34:35]
	v_mov_b32_e32 v10, v33
	v_pk_add_f32 v[16:17], v[24:25], v[42:43]
	v_mov_b32_e32 v25, v58
	v_mov_b32_e32 v21, v13
	v_pk_fma_f32 v[62:63], v[8:9], v[68:69], v[2:3]
	v_pk_add_f32 v[58:59], v[58:59], v[10:11] neg_lo:[0,1] neg_hi:[0,1]
	v_pk_add_f32 v[12:13], v[24:25], v[32:33]
	v_mov_b32_e32 v91, v64
	v_mov_b32_e32 v37, v5
	;; [unrolled: 1-line block ×4, first 2 shown]
	v_pk_add_f32 v[68:69], v[50:51], v[38:39] neg_lo:[0,1] neg_hi:[0,1]
	v_pk_add_f32 v[54:55], v[50:51], v[38:39]
	v_mov_b32_e32 v11, v62
	v_mov_b32_e32 v12, v58
	;; [unrolled: 1-line block ×3, first 2 shown]
	v_pk_mul_f32 v[66:67], v[90:91], s[18:19]
	v_mov_b32_e32 v49, v15
	v_mov_b32_e32 v23, v57
	;; [unrolled: 1-line block ×3, first 2 shown]
	v_pk_add_f32 v[70:71], v[46:47], v[36:37] neg_lo:[0,1] neg_hi:[0,1]
	v_pk_add_f32 v[6:7], v[46:47], v[36:37]
	v_pk_add_f32 v[60:61], v[62:63], v[14:15] neg_lo:[0,1] neg_hi:[0,1]
	v_pk_add_f32 v[10:11], v[10:11], v[40:41]
	v_mov_b32_e32 v55, v68
	v_pk_fma_f32 v[68:69], v[58:59], s[6:7], v[66:67] neg_lo:[1,0,0] neg_hi:[1,0,0]
	v_pk_fma_f32 v[64:65], v[12:13], s[6:7], v[66:67]
	v_pk_add_f32 v[72:73], v[48:49], v[20:21] neg_lo:[0,1] neg_hi:[0,1]
	v_pk_add_f32 v[4:5], v[48:49], v[20:21]
	v_pk_add_f32 v[74:75], v[18:19], v[22:23] neg_lo:[0,1] neg_hi:[0,1]
	v_pk_add_f32 v[2:3], v[18:19], v[22:23]
	v_pk_add_f32 v[8:9], v[8:9], v[44:45]
	v_mov_b32_e32 v10, v60
	v_mov_b32_e32 v88, v6
	;; [unrolled: 1-line block ×5, first 2 shown]
	v_pk_mul_f32 v[70:71], v[54:55], s[26:27]
	v_mov_b32_e32 v8, v45
	v_mov_b32_e32 v92, v4
	;; [unrolled: 1-line block ×7, first 2 shown]
	v_pk_add_f32 v[72:73], v[0:1], v[68:69]
	v_pk_fma_f32 v[74:75], v[60:61], s[10:11], v[70:71] neg_lo:[1,0,0] neg_hi:[1,0,0]
	v_pk_fma_f32 v[68:69], v[10:11], s[10:11], v[70:71]
	v_pk_add_f32 v[56:57], v[52:53], v[8:9] neg_lo:[0,1] neg_hi:[0,1]
	v_mov_b32_e32 v75, v69
	v_mov_b32_e32 v8, v56
	v_pk_add_f32 v[76:77], v[74:75], v[72:73]
	v_pk_mul_f32 v[74:75], v[16:17], s[34:35]
	v_pk_mul_f32 v[14:15], v[90:91], s[14:15]
	v_pk_fma_f32 v[78:79], v[56:57], s[12:13], v[74:75] neg_lo:[1,0,0] neg_hi:[1,0,0]
	v_pk_fma_f32 v[72:73], v[8:9], s[12:13], v[74:75]
	s_mov_b32 s15, 0x3eedf032
	v_mov_b32_e32 v79, v73
	v_pk_add_f32 v[80:81], v[78:79], v[76:77]
	v_pk_mul_f32 v[76:77], v[88:89], s[38:39]
	s_mov_b32 s22, s15
	v_pk_fma_f32 v[82:83], v[6:7], s[16:17], v[76:77] neg_lo:[1,0,0] neg_hi:[1,0,0]
	v_pk_fma_f32 v[78:79], v[6:7], s[16:17], v[76:77]
	v_pk_mul_f32 v[102:103], v[54:55], s[34:35]
	v_mov_b32_e32 v83, v79
	v_pk_add_f32 v[84:85], v[82:83], v[80:81]
	v_pk_mul_f32 v[80:81], v[92:93], s[42:43]
	v_pk_fma_f32 v[106:107], v[60:61], s[12:13], v[102:103] neg_lo:[1,0,0] neg_hi:[1,0,0]
	v_pk_fma_f32 v[86:87], v[4:5], s[20:21], v[80:81] neg_lo:[1,0,0] neg_hi:[1,0,0]
	v_pk_fma_f32 v[82:83], v[4:5], s[20:21], v[80:81]
	v_pk_mul_f32 v[126:127], v[54:55], s[38:39]
	v_mov_b32_e32 v87, v83
	v_pk_add_f32 v[96:97], v[86:87], v[84:85]
	v_pk_mul_f32 v[84:85], v[94:95], s[14:15]
	v_pk_fma_f32 v[128:129], v[60:61], s[16:17], v[126:127] neg_lo:[1,0,0] neg_hi:[1,0,0]
	v_pk_fma_f32 v[98:99], v[2:3], s[22:23], v[84:85] neg_lo:[1,0,0] neg_hi:[1,0,0]
	v_pk_fma_f32 v[86:87], v[2:3], s[22:23], v[84:85]
	v_pk_fma_f32 v[130:131], v[10:11], s[16:17], v[126:127]
	v_mov_b32_e32 v99, v87
	v_pk_add_f32 v[120:121], v[98:99], v[96:97]
	v_pk_mul_f32 v[98:99], v[90:91], s[24:25]
	v_mov_b32_e32 v129, v131
	v_pk_fma_f32 v[100:101], v[58:59], s[8:9], v[98:99] neg_lo:[1,0,0] neg_hi:[1,0,0]
	v_pk_fma_f32 v[96:97], v[12:13], s[8:9], v[98:99]
	s_mov_b32 s38, s45
	v_mov_b32_e32 v101, v97
	v_pk_add_f32 v[104:105], v[0:1], v[100:101]
	v_pk_fma_f32 v[100:101], v[10:11], s[12:13], v[102:103]
	s_mov_b32 s39, s34
	v_mov_b32_e32 v107, v101
	v_pk_add_f32 v[108:109], v[106:107], v[104:105]
	v_pk_mul_f32 v[104:105], v[16:17], s[28:29]
	s_mov_b32 s28, s31
	v_pk_fma_f32 v[110:111], v[56:57], s[36:37], v[104:105] neg_lo:[1,0,0] neg_hi:[1,0,0]
	v_pk_fma_f32 v[106:107], v[8:9], s[36:37], v[104:105]
	s_mov_b32 s29, s30
	v_mov_b32_e32 v111, v107
	v_pk_add_f32 v[112:113], v[110:111], v[108:109]
	v_pk_mul_f32 v[110:111], v[88:89], s[14:15]
	v_pk_mul_f32 v[154:155], v[54:55], s[42:43]
	v_pk_fma_f32 v[114:115], v[6:7], s[22:23], v[110:111] neg_lo:[1,0,0] neg_hi:[1,0,0]
	v_pk_fma_f32 v[108:109], v[6:7], s[22:23], v[110:111]
	v_pk_fma_f32 v[156:157], v[60:61], s[20:21], v[154:155] neg_lo:[1,0,0] neg_hi:[1,0,0]
	v_mov_b32_e32 v115, v109
	v_pk_add_f32 v[116:117], v[114:115], v[112:113]
	v_pk_mul_f32 v[114:115], v[92:93], s[18:19]
	v_pk_fma_f32 v[158:159], v[10:11], s[20:21], v[154:155]
	v_pk_fma_f32 v[118:119], v[4:5], s[6:7], v[114:115] neg_lo:[1,0,0] neg_hi:[1,0,0]
	v_pk_fma_f32 v[112:113], v[4:5], s[6:7], v[114:115]
	v_mov_b32_e32 v157, v159
	v_mov_b32_e32 v119, v113
	v_pk_add_f32 v[122:123], v[118:119], v[116:117]
	v_pk_mul_f32 v[118:119], v[94:95], s[30:31]
	v_mov_b32_e32 v32, v34
	v_pk_fma_f32 v[124:125], v[2:3], s[28:29], v[118:119] neg_lo:[1,0,0] neg_hi:[1,0,0]
	v_pk_fma_f32 v[116:117], v[2:3], s[28:29], v[118:119]
	v_pk_add_f32 v[34:35], v[0:1], v[24:25]
	v_mov_b32_e32 v125, v117
	v_pk_add_f32 v[122:123], v[124:125], v[122:123]
	ds_write2_b64 v29, v[120:121], v[122:123] offset0:4 offset1:134
	v_pk_mul_f32 v[120:121], v[90:91], s[26:27]
	v_pk_add_f32 v[26:27], v[0:1], v[26:27]
	v_pk_fma_f32 v[122:123], v[58:59], s[10:11], v[120:121] neg_lo:[1,0,0] neg_hi:[1,0,0]
	v_pk_fma_f32 v[124:125], v[12:13], s[10:11], v[120:121]
	v_mov_b32_e32 v27, v35
	v_mov_b32_e32 v123, v125
	v_pk_add_f32 v[122:123], v[0:1], v[122:123]
	v_mov_b32_e32 v51, v62
	v_pk_add_f32 v[122:123], v[128:129], v[122:123]
	v_pk_mul_f32 v[128:129], v[16:17], s[14:15]
	v_pk_add_f32 v[26:27], v[26:27], v[50:51]
	v_pk_fma_f32 v[134:135], v[56:57], s[22:23], v[128:129] neg_lo:[1,0,0] neg_hi:[1,0,0]
	v_pk_fma_f32 v[136:137], v[8:9], s[22:23], v[128:129]
	v_mov_b32_e32 v25, v52
	v_mov_b32_e32 v135, v137
	v_pk_add_f32 v[122:123], v[134:135], v[122:123]
	v_pk_mul_f32 v[134:135], v[88:89], s[24:25]
	v_pk_add_f32 v[24:25], v[26:27], v[24:25]
	v_pk_fma_f32 v[138:139], v[6:7], s[8:9], v[134:135] neg_lo:[1,0,0] neg_hi:[1,0,0]
	v_pk_fma_f32 v[140:141], v[6:7], s[8:9], v[134:135]
	v_pk_add_f32 v[24:25], v[24:25], v[46:47]
	v_mov_b32_e32 v139, v141
	v_pk_add_f32 v[122:123], v[138:139], v[122:123]
	v_pk_mul_f32 v[138:139], v[92:93], s[44:45]
	v_pk_add_f32 v[24:25], v[24:25], v[48:49]
	v_pk_fma_f32 v[142:143], v[4:5], s[38:39], v[138:139] neg_lo:[1,0,0] neg_hi:[1,0,0]
	v_pk_fma_f32 v[144:145], v[4:5], s[38:39], v[138:139]
	v_pk_add_f32 v[18:19], v[24:25], v[18:19]
	;; [unrolled: 7-line block ×3, first 2 shown]
	v_mov_b32_e32 v147, v149
	v_pk_add_f32 v[122:123], v[146:147], v[122:123]
	v_pk_mul_f32 v[146:147], v[90:91], s[30:31]
	v_add_u32_e32 v29, 0x1000, v132
	v_pk_fma_f32 v[150:151], v[58:59], s[28:29], v[146:147] neg_lo:[1,0,0] neg_hi:[1,0,0]
	v_pk_fma_f32 v[152:153], v[12:13], s[28:29], v[146:147]
	v_pk_mul_f32 v[90:91], v[90:91], s[34:35]
	v_mov_b32_e32 v151, v153
	v_pk_add_f32 v[150:151], v[0:1], v[150:151]
	v_mov_b32_e32 v44, v42
	v_pk_add_f32 v[150:151], v[156:157], v[150:151]
	v_pk_mul_f32 v[156:157], v[16:17], s[18:19]
	v_pk_add_f32 v[18:19], v[18:19], v[36:37]
	v_pk_fma_f32 v[160:161], v[56:57], s[6:7], v[156:157] neg_lo:[1,0,0] neg_hi:[1,0,0]
	v_pk_fma_f32 v[162:163], v[8:9], s[6:7], v[156:157]
	v_mov_b32_e32 v40, v38
	v_mov_b32_e32 v161, v163
	v_pk_add_f32 v[150:151], v[160:161], v[150:151]
	v_pk_mul_f32 v[160:161], v[88:89], s[44:45]
	v_pk_add_f32 v[18:19], v[18:19], v[44:45]
	v_pk_fma_f32 v[164:165], v[6:7], s[38:39], v[160:161] neg_lo:[1,0,0] neg_hi:[1,0,0]
	v_pk_fma_f32 v[166:167], v[6:7], s[38:39], v[160:161]
	v_pk_add_f32 v[18:19], v[18:19], v[40:41]
	v_mov_b32_e32 v165, v167
	v_pk_add_f32 v[150:151], v[164:165], v[150:151]
	v_pk_mul_f32 v[164:165], v[92:93], s[14:15]
	v_pk_fma_f32 v[20:21], v[58:59], s[4:5], v[14:15] neg_lo:[1,0,0] neg_hi:[1,0,0]
	v_pk_fma_f32 v[168:169], v[4:5], s[22:23], v[164:165] neg_lo:[1,0,0] neg_hi:[1,0,0]
	v_pk_fma_f32 v[170:171], v[4:5], s[22:23], v[164:165]
	v_pk_fma_f32 v[22:23], v[12:13], s[4:5], v[14:15]
	v_mov_b32_e32 v169, v171
	v_pk_add_f32 v[150:151], v[168:169], v[150:151]
	v_pk_mul_f32 v[168:169], v[94:95], s[26:27]
	v_pk_mul_f32 v[24:25], v[54:55], s[18:19]
	v_pk_fma_f32 v[172:173], v[2:3], s[10:11], v[168:169] neg_lo:[1,0,0] neg_hi:[1,0,0]
	v_pk_fma_f32 v[174:175], v[2:3], s[10:11], v[168:169]
	v_pk_add_f32 v[18:19], v[18:19], v[32:33]
	v_mov_b32_e32 v173, v175
	v_pk_add_f32 v[150:151], v[172:173], v[150:151]
	ds_write2_b64 v29, v[122:123], v[150:151] offset0:8 offset1:138
	v_pk_fma_f32 v[122:123], v[58:59], s[12:13], v[90:91] neg_lo:[1,0,0] neg_hi:[1,0,0]
	v_pk_fma_f32 v[150:151], v[12:13], s[12:13], v[90:91]
	v_pk_mul_f32 v[172:173], v[54:55], s[14:15]
	v_mov_b32_e32 v123, v151
	v_pk_fma_f32 v[176:177], v[60:61], s[22:23], v[172:173] neg_lo:[1,0,0] neg_hi:[1,0,0]
	v_pk_fma_f32 v[178:179], v[10:11], s[22:23], v[172:173]
	v_pk_add_f32 v[122:123], v[0:1], v[122:123]
	v_mov_b32_e32 v177, v179
	v_mov_b32_e32 v21, v23
	v_pk_fma_f32 v[26:27], v[60:61], s[6:7], v[24:25] neg_lo:[1,0,0] neg_hi:[1,0,0]
	v_pk_fma_f32 v[32:33], v[10:11], s[6:7], v[24:25]
	v_pk_add_f32 v[122:123], v[176:177], v[122:123]
	v_pk_mul_f32 v[176:177], v[16:17], s[30:31]
	v_pk_add_f32 v[20:21], v[0:1], v[20:21]
	v_mov_b32_e32 v27, v33
	v_pk_mul_f32 v[16:17], v[16:17], s[24:25]
	v_pk_add_f32 v[20:21], v[26:27], v[20:21]
	v_pk_fma_f32 v[26:27], v[56:57], s[8:9], v[16:17] neg_lo:[1,0,0] neg_hi:[1,0,0]
	v_pk_fma_f32 v[34:35], v[8:9], s[8:9], v[16:17]
	v_add_u32_e32 v23, 0x2000, v132
	v_mov_b32_e32 v27, v35
	v_pk_add_f32 v[20:21], v[26:27], v[20:21]
	v_pk_mul_f32 v[26:27], v[88:89], s[26:27]
	v_pk_fma_f32 v[180:181], v[56:57], s[28:29], v[176:177] neg_lo:[1,0,0] neg_hi:[1,0,0]
	v_pk_fma_f32 v[36:37], v[6:7], s[10:11], v[26:27] neg_lo:[1,0,0] neg_hi:[1,0,0]
	v_pk_fma_f32 v[38:39], v[6:7], s[10:11], v[26:27]
	v_pk_fma_f32 v[182:183], v[8:9], s[28:29], v[176:177]
	v_mov_b32_e32 v37, v39
	v_pk_add_f32 v[20:21], v[36:37], v[20:21]
	v_pk_mul_f32 v[36:37], v[92:93], s[30:31]
	v_mov_b32_e32 v181, v183
	v_pk_fma_f32 v[40:41], v[4:5], s[28:29], v[36:37] neg_lo:[1,0,0] neg_hi:[1,0,0]
	v_pk_fma_f32 v[42:43], v[4:5], s[28:29], v[36:37]
	v_pk_add_f32 v[122:123], v[180:181], v[122:123]
	v_mov_b32_e32 v41, v43
	v_pk_add_f32 v[20:21], v[40:41], v[20:21]
	v_pk_mul_f32 v[40:41], v[94:95], s[34:35]
	v_pk_mul_f32 v[180:181], v[88:89], s[46:47]
	v_pk_fma_f32 v[44:45], v[2:3], s[12:13], v[40:41] neg_lo:[1,0,0] neg_hi:[1,0,0]
	v_pk_fma_f32 v[46:47], v[2:3], s[12:13], v[40:41]
	v_pk_fma_f32 v[184:185], v[6:7], s[40:41], v[180:181] neg_lo:[1,0,0] neg_hi:[1,0,0]
	v_mov_b32_e32 v45, v47
	v_pk_add_f32 v[20:21], v[44:45], v[20:21]
	ds_write2_b64 v132, v[18:19], v[20:21] offset1:130
	v_pk_fma_f32 v[20:21], v[8:9], s[6:7], v[156:157] neg_lo:[0,0,1] neg_hi:[0,0,1]
	v_pk_fma_f32 v[18:19], v[12:13], s[28:29], v[146:147] neg_lo:[0,0,1] neg_hi:[0,0,1]
	v_mov_b32_e32 v163, v21
	v_pk_fma_f32 v[20:21], v[6:7], s[38:39], v[160:161] neg_lo:[0,0,1] neg_hi:[0,0,1]
	v_mov_b32_e32 v153, v19
	v_mov_b32_e32 v167, v21
	v_pk_fma_f32 v[20:21], v[4:5], s[22:23], v[164:165] neg_lo:[0,0,1] neg_hi:[0,0,1]
	v_pk_fma_f32 v[18:19], v[10:11], s[20:21], v[154:155] neg_lo:[0,0,1] neg_hi:[0,0,1]
	v_mov_b32_e32 v171, v21
	v_pk_fma_f32 v[20:21], v[2:3], s[10:11], v[168:169] neg_lo:[0,0,1] neg_hi:[0,0,1]
	v_pk_fma_f32 v[44:45], v[10:11], s[16:17], v[126:127] neg_lo:[0,0,1] neg_hi:[0,0,1]
	v_mov_b32_e32 v175, v21
	v_pk_fma_f32 v[20:21], v[12:13], s[10:11], v[120:121] neg_lo:[0,0,1] neg_hi:[0,0,1]
	v_mov_b32_e32 v159, v19
	v_mov_b32_e32 v125, v21
	v_pk_add_f32 v[18:19], v[0:1], v[152:153]
	v_pk_add_f32 v[20:21], v[0:1], v[124:125]
	v_mov_b32_e32 v131, v45
	v_pk_fma_f32 v[44:45], v[8:9], s[22:23], v[128:129] neg_lo:[0,0,1] neg_hi:[0,0,1]
	v_pk_add_f32 v[18:19], v[158:159], v[18:19]
	v_pk_add_f32 v[20:21], v[130:131], v[20:21]
	v_mov_b32_e32 v137, v45
	v_pk_fma_f32 v[44:45], v[6:7], s[8:9], v[134:135] neg_lo:[0,0,1] neg_hi:[0,0,1]
	;; [unrolled: 4-line block ×4, first 2 shown]
	v_pk_add_f32 v[18:19], v[170:171], v[18:19]
	v_pk_add_f32 v[20:21], v[144:145], v[20:21]
	v_mov_b32_e32 v149, v45
	v_pk_add_f32 v[18:19], v[174:175], v[18:19]
	v_pk_add_f32 v[20:21], v[148:149], v[20:21]
	ds_write2_b64 v23, v[18:19], v[20:21] offset0:16 offset1:146
	v_pk_fma_f32 v[20:21], v[10:11], s[12:13], v[102:103] neg_lo:[0,0,1] neg_hi:[0,0,1]
	v_pk_fma_f32 v[18:19], v[12:13], s[8:9], v[98:99] neg_lo:[0,0,1] neg_hi:[0,0,1]
	v_mov_b32_e32 v101, v21
	v_pk_fma_f32 v[20:21], v[8:9], s[36:37], v[104:105] neg_lo:[0,0,1] neg_hi:[0,0,1]
	v_mov_b32_e32 v97, v19
	v_mov_b32_e32 v107, v21
	v_pk_fma_f32 v[20:21], v[6:7], s[22:23], v[110:111] neg_lo:[0,0,1] neg_hi:[0,0,1]
	v_pk_fma_f32 v[44:45], v[10:11], s[10:11], v[70:71] neg_lo:[0,0,1] neg_hi:[0,0,1]
	v_mov_b32_e32 v109, v21
	v_pk_fma_f32 v[20:21], v[4:5], s[6:7], v[114:115] neg_lo:[0,0,1] neg_hi:[0,0,1]
	v_pk_add_f32 v[18:19], v[0:1], v[96:97]
	v_mov_b32_e32 v113, v21
	v_pk_fma_f32 v[20:21], v[2:3], s[28:29], v[118:119] neg_lo:[0,0,1] neg_hi:[0,0,1]
	v_mov_b32_e32 v69, v45
	v_mov_b32_e32 v117, v21
	v_pk_fma_f32 v[20:21], v[12:13], s[6:7], v[66:67] neg_lo:[0,0,1] neg_hi:[0,0,1]
	v_pk_fma_f32 v[44:45], v[8:9], s[12:13], v[74:75] neg_lo:[0,0,1] neg_hi:[0,0,1]
	v_mov_b32_e32 v65, v21
	v_pk_add_f32 v[20:21], v[0:1], v[64:65]
	v_pk_add_f32 v[18:19], v[100:101], v[18:19]
	;; [unrolled: 1-line block ×3, first 2 shown]
	v_mov_b32_e32 v73, v45
	v_pk_fma_f32 v[44:45], v[6:7], s[16:17], v[76:77] neg_lo:[0,0,1] neg_hi:[0,0,1]
	v_pk_add_f32 v[18:19], v[106:107], v[18:19]
	v_pk_add_f32 v[20:21], v[72:73], v[20:21]
	v_mov_b32_e32 v79, v45
	v_pk_fma_f32 v[44:45], v[4:5], s[20:21], v[80:81] neg_lo:[0,0,1] neg_hi:[0,0,1]
	v_pk_add_f32 v[18:19], v[108:109], v[18:19]
	v_pk_add_f32 v[20:21], v[78:79], v[20:21]
	v_mov_b32_e32 v83, v45
	v_pk_fma_f32 v[44:45], v[2:3], s[22:23], v[84:85] neg_lo:[0,0,1] neg_hi:[0,0,1]
	v_pk_fma_f32 v[186:187], v[6:7], s[40:41], v[180:181]
	v_pk_add_f32 v[18:19], v[112:113], v[18:19]
	v_pk_add_f32 v[20:21], v[82:83], v[20:21]
	v_mov_b32_e32 v87, v45
	v_mov_b32_e32 v185, v187
	v_pk_fma_f32 v[90:91], v[12:13], s[12:13], v[90:91] neg_lo:[0,0,1] neg_hi:[0,0,1]
	v_pk_add_f32 v[18:19], v[116:117], v[18:19]
	v_pk_add_f32 v[20:21], v[86:87], v[20:21]
	v_add_u32_e32 v23, 0x2800, v132
	v_pk_fma_f32 v[12:13], v[12:13], s[4:5], v[14:15] neg_lo:[0,0,1] neg_hi:[0,0,1]
	v_pk_add_f32 v[122:123], v[184:185], v[122:123]
	v_pk_mul_f32 v[184:185], v[92:93], s[26:27]
	v_mov_b32_e32 v151, v91
	v_pk_fma_f32 v[90:91], v[10:11], s[22:23], v[172:173] neg_lo:[0,0,1] neg_hi:[0,0,1]
	ds_write2_b64 v23, v[18:19], v[20:21] offset0:20 offset1:150
	v_mov_b32_e32 v23, v13
	v_pk_fma_f32 v[10:11], v[10:11], s[6:7], v[24:25] neg_lo:[0,0,1] neg_hi:[0,0,1]
	v_pk_fma_f32 v[188:189], v[4:5], s[10:11], v[184:185] neg_lo:[1,0,0] neg_hi:[1,0,0]
	v_pk_fma_f32 v[190:191], v[4:5], s[10:11], v[184:185]
	v_mov_b32_e32 v179, v91
	v_pk_add_f32 v[90:91], v[0:1], v[150:151]
	v_pk_fma_f32 v[150:151], v[8:9], s[28:29], v[176:177] neg_lo:[0,0,1] neg_hi:[0,0,1]
	v_pk_add_f32 v[0:1], v[0:1], v[22:23]
	v_mov_b32_e32 v33, v11
	v_pk_fma_f32 v[8:9], v[8:9], s[8:9], v[16:17] neg_lo:[0,0,1] neg_hi:[0,0,1]
	v_mov_b32_e32 v189, v191
	v_pk_add_f32 v[90:91], v[178:179], v[90:91]
	v_mov_b32_e32 v183, v151
	v_pk_fma_f32 v[150:151], v[6:7], s[40:41], v[180:181] neg_lo:[0,0,1] neg_hi:[0,0,1]
	v_pk_add_f32 v[0:1], v[32:33], v[0:1]
	v_mov_b32_e32 v35, v9
	v_pk_fma_f32 v[6:7], v[6:7], s[10:11], v[26:27] neg_lo:[0,0,1] neg_hi:[0,0,1]
	v_pk_add_f32 v[122:123], v[188:189], v[122:123]
	v_pk_mul_f32 v[188:189], v[94:95], s[42:43]
	v_pk_add_f32 v[90:91], v[182:183], v[90:91]
	v_mov_b32_e32 v187, v151
	v_pk_fma_f32 v[150:151], v[4:5], s[10:11], v[184:185] neg_lo:[0,0,1] neg_hi:[0,0,1]
	v_pk_add_f32 v[0:1], v[34:35], v[0:1]
	v_mov_b32_e32 v39, v7
	v_pk_fma_f32 v[4:5], v[4:5], s[28:29], v[36:37] neg_lo:[0,0,1] neg_hi:[0,0,1]
	v_pk_fma_f32 v[192:193], v[2:3], s[20:21], v[188:189] neg_lo:[1,0,0] neg_hi:[1,0,0]
	v_pk_fma_f32 v[194:195], v[2:3], s[20:21], v[188:189]
	v_pk_add_f32 v[90:91], v[186:187], v[90:91]
	v_mov_b32_e32 v191, v151
	v_pk_fma_f32 v[150:151], v[2:3], s[20:21], v[188:189] neg_lo:[0,0,1] neg_hi:[0,0,1]
	v_pk_add_f32 v[0:1], v[38:39], v[0:1]
	v_mov_b32_e32 v43, v5
	v_pk_fma_f32 v[2:3], v[2:3], s[12:13], v[40:41] neg_lo:[0,0,1] neg_hi:[0,0,1]
	v_mov_b32_e32 v193, v195
	v_pk_add_f32 v[90:91], v[190:191], v[90:91]
	v_mov_b32_e32 v195, v151
	v_pk_add_f32 v[0:1], v[42:43], v[0:1]
	;; [unrolled: 2-line block ×3, first 2 shown]
	v_pk_add_f32 v[90:91], v[194:195], v[90:91]
	v_add_u32_e32 v29, 0x1800, v132
	v_pk_add_f32 v[0:1], v[46:47], v[0:1]
	ds_write2_b64 v29, v[122:123], v[90:91] offset0:12 offset1:142
	ds_write_b64 v132, v[0:1] offset:12480
.LBB0_23:
	s_or_b64 exec, exec, s[2:3]
	s_waitcnt lgkmcnt(0)
	s_barrier
	s_and_saveexec_b64 s[2:3], s[0:1]
	s_cbranch_execz .LBB0_25
; %bb.24:
	v_lshl_add_u32 v8, v28, 3, 0
	ds_read2_b64 v[0:3], v8 offset1:169
	v_mov_b32_e32 v29, 0
	v_add_u32_e32 v4, 0xa9, v28
	v_lshl_add_u64 v[6:7], v[28:29], 3, v[30:31]
	v_mov_b32_e32 v5, v29
	s_waitcnt lgkmcnt(0)
	global_store_dwordx2 v[6:7], v[0:1], off
	v_lshl_add_u64 v[0:1], v[4:5], 3, v[30:31]
	v_add_u32_e32 v4, 0x800, v8
	ds_read2_b64 v[4:7], v4 offset0:82 offset1:251
	global_store_dwordx2 v[0:1], v[2:3], off
	v_add_u32_e32 v0, 0x152, v28
	v_mov_b32_e32 v1, v29
	v_lshl_add_u64 v[0:1], v[0:1], 3, v[30:31]
	s_waitcnt lgkmcnt(0)
	global_store_dwordx2 v[0:1], v[4:5], off
	v_add_u32_e32 v0, 0x1fb, v28
	v_mov_b32_e32 v1, v29
	v_lshl_add_u64 v[4:5], v[0:1], 3, v[30:31]
	v_add_u32_e32 v0, 0x1400, v8
	ds_read2_b64 v[0:3], v0 offset0:36 offset1:205
	global_store_dwordx2 v[4:5], v[6:7], off
	v_add_u32_e32 v4, 0x2a4, v28
	v_mov_b32_e32 v5, v29
	v_lshl_add_u64 v[4:5], v[4:5], 3, v[30:31]
	s_waitcnt lgkmcnt(0)
	global_store_dwordx2 v[4:5], v[0:1], off
	v_add_u32_e32 v4, 0x1e00, v8
	ds_read2_b64 v[4:7], v4 offset0:54 offset1:223
	v_add_u32_e32 v0, 0x34d, v28
	v_mov_b32_e32 v1, v29
	v_lshl_add_u64 v[0:1], v[0:1], 3, v[30:31]
	global_store_dwordx2 v[0:1], v[2:3], off
	v_add_u32_e32 v0, 0x3f6, v28
	v_mov_b32_e32 v1, v29
	v_lshl_add_u64 v[0:1], v[0:1], 3, v[30:31]
	s_waitcnt lgkmcnt(0)
	global_store_dwordx2 v[0:1], v[4:5], off
	v_add_u32_e32 v0, 0x49f, v28
	v_mov_b32_e32 v1, v29
	v_lshl_add_u64 v[4:5], v[0:1], 3, v[30:31]
	v_add_u32_e32 v0, 0x2800, v8
	ds_read2_b64 v[0:3], v0 offset0:72 offset1:241
	global_store_dwordx2 v[4:5], v[6:7], off
	v_add_u32_e32 v4, 0x548, v28
	v_mov_b32_e32 v5, v29
	v_lshl_add_u64 v[4:5], v[4:5], 3, v[30:31]
	v_add_u32_e32 v28, 0x5f1, v28
	s_waitcnt lgkmcnt(0)
	global_store_dwordx2 v[4:5], v[0:1], off
	v_lshl_add_u64 v[0:1], v[28:29], 3, v[30:31]
	global_store_dwordx2 v[0:1], v[2:3], off
.LBB0_25:
	s_endpgm
	.section	.rodata,"a",@progbits
	.p2align	6, 0x0
	.amdhsa_kernel fft_rtc_fwd_len1690_factors_13_10_13_wgs_169_tpt_169_sp_ip_CI_unitstride_sbrr_C2R_dirReg
		.amdhsa_group_segment_fixed_size 0
		.amdhsa_private_segment_fixed_size 0
		.amdhsa_kernarg_size 88
		.amdhsa_user_sgpr_count 2
		.amdhsa_user_sgpr_dispatch_ptr 0
		.amdhsa_user_sgpr_queue_ptr 0
		.amdhsa_user_sgpr_kernarg_segment_ptr 1
		.amdhsa_user_sgpr_dispatch_id 0
		.amdhsa_user_sgpr_kernarg_preload_length 0
		.amdhsa_user_sgpr_kernarg_preload_offset 0
		.amdhsa_user_sgpr_private_segment_size 0
		.amdhsa_uses_dynamic_stack 0
		.amdhsa_enable_private_segment 0
		.amdhsa_system_sgpr_workgroup_id_x 1
		.amdhsa_system_sgpr_workgroup_id_y 0
		.amdhsa_system_sgpr_workgroup_id_z 0
		.amdhsa_system_sgpr_workgroup_info 0
		.amdhsa_system_vgpr_workitem_id 0
		.amdhsa_next_free_vgpr 196
		.amdhsa_next_free_sgpr 48
		.amdhsa_accum_offset 196
		.amdhsa_reserve_vcc 1
		.amdhsa_float_round_mode_32 0
		.amdhsa_float_round_mode_16_64 0
		.amdhsa_float_denorm_mode_32 3
		.amdhsa_float_denorm_mode_16_64 3
		.amdhsa_dx10_clamp 1
		.amdhsa_ieee_mode 1
		.amdhsa_fp16_overflow 0
		.amdhsa_tg_split 0
		.amdhsa_exception_fp_ieee_invalid_op 0
		.amdhsa_exception_fp_denorm_src 0
		.amdhsa_exception_fp_ieee_div_zero 0
		.amdhsa_exception_fp_ieee_overflow 0
		.amdhsa_exception_fp_ieee_underflow 0
		.amdhsa_exception_fp_ieee_inexact 0
		.amdhsa_exception_int_div_zero 0
	.end_amdhsa_kernel
	.text
.Lfunc_end0:
	.size	fft_rtc_fwd_len1690_factors_13_10_13_wgs_169_tpt_169_sp_ip_CI_unitstride_sbrr_C2R_dirReg, .Lfunc_end0-fft_rtc_fwd_len1690_factors_13_10_13_wgs_169_tpt_169_sp_ip_CI_unitstride_sbrr_C2R_dirReg
                                        ; -- End function
	.section	.AMDGPU.csdata,"",@progbits
; Kernel info:
; codeLenInByte = 9812
; NumSgprs: 54
; NumVgprs: 196
; NumAgprs: 0
; TotalNumVgprs: 196
; ScratchSize: 0
; MemoryBound: 0
; FloatMode: 240
; IeeeMode: 1
; LDSByteSize: 0 bytes/workgroup (compile time only)
; SGPRBlocks: 6
; VGPRBlocks: 24
; NumSGPRsForWavesPerEU: 54
; NumVGPRsForWavesPerEU: 196
; AccumOffset: 196
; Occupancy: 2
; WaveLimiterHint : 1
; COMPUTE_PGM_RSRC2:SCRATCH_EN: 0
; COMPUTE_PGM_RSRC2:USER_SGPR: 2
; COMPUTE_PGM_RSRC2:TRAP_HANDLER: 0
; COMPUTE_PGM_RSRC2:TGID_X_EN: 1
; COMPUTE_PGM_RSRC2:TGID_Y_EN: 0
; COMPUTE_PGM_RSRC2:TGID_Z_EN: 0
; COMPUTE_PGM_RSRC2:TIDIG_COMP_CNT: 0
; COMPUTE_PGM_RSRC3_GFX90A:ACCUM_OFFSET: 48
; COMPUTE_PGM_RSRC3_GFX90A:TG_SPLIT: 0
	.text
	.p2alignl 6, 3212836864
	.fill 256, 4, 3212836864
	.type	__hip_cuid_d7f33039a0bc3bc2,@object ; @__hip_cuid_d7f33039a0bc3bc2
	.section	.bss,"aw",@nobits
	.globl	__hip_cuid_d7f33039a0bc3bc2
__hip_cuid_d7f33039a0bc3bc2:
	.byte	0                               ; 0x0
	.size	__hip_cuid_d7f33039a0bc3bc2, 1

	.ident	"AMD clang version 19.0.0git (https://github.com/RadeonOpenCompute/llvm-project roc-6.4.0 25133 c7fe45cf4b819c5991fe208aaa96edf142730f1d)"
	.section	".note.GNU-stack","",@progbits
	.addrsig
	.addrsig_sym __hip_cuid_d7f33039a0bc3bc2
	.amdgpu_metadata
---
amdhsa.kernels:
  - .agpr_count:     0
    .args:
      - .actual_access:  read_only
        .address_space:  global
        .offset:         0
        .size:           8
        .value_kind:     global_buffer
      - .offset:         8
        .size:           8
        .value_kind:     by_value
      - .actual_access:  read_only
        .address_space:  global
        .offset:         16
        .size:           8
        .value_kind:     global_buffer
      - .actual_access:  read_only
        .address_space:  global
        .offset:         24
        .size:           8
        .value_kind:     global_buffer
      - .offset:         32
        .size:           8
        .value_kind:     by_value
      - .actual_access:  read_only
        .address_space:  global
        .offset:         40
        .size:           8
        .value_kind:     global_buffer
      - .actual_access:  read_only
        .address_space:  global
        .offset:         48
        .size:           8
        .value_kind:     global_buffer
      - .offset:         56
        .size:           4
        .value_kind:     by_value
      - .actual_access:  read_only
        .address_space:  global
        .offset:         64
        .size:           8
        .value_kind:     global_buffer
      - .actual_access:  read_only
        .address_space:  global
        .offset:         72
        .size:           8
        .value_kind:     global_buffer
      - .address_space:  global
        .offset:         80
        .size:           8
        .value_kind:     global_buffer
    .group_segment_fixed_size: 0
    .kernarg_segment_align: 8
    .kernarg_segment_size: 88
    .language:       OpenCL C
    .language_version:
      - 2
      - 0
    .max_flat_workgroup_size: 169
    .name:           fft_rtc_fwd_len1690_factors_13_10_13_wgs_169_tpt_169_sp_ip_CI_unitstride_sbrr_C2R_dirReg
    .private_segment_fixed_size: 0
    .sgpr_count:     54
    .sgpr_spill_count: 0
    .symbol:         fft_rtc_fwd_len1690_factors_13_10_13_wgs_169_tpt_169_sp_ip_CI_unitstride_sbrr_C2R_dirReg.kd
    .uniform_work_group_size: 1
    .uses_dynamic_stack: false
    .vgpr_count:     196
    .vgpr_spill_count: 0
    .wavefront_size: 64
amdhsa.target:   amdgcn-amd-amdhsa--gfx950
amdhsa.version:
  - 1
  - 2
...

	.end_amdgpu_metadata
